;; amdgpu-corpus repo=ROCm/rocFFT kind=compiled arch=gfx1201 opt=O3
	.text
	.amdgcn_target "amdgcn-amd-amdhsa--gfx1201"
	.amdhsa_code_object_version 6
	.protected	bluestein_single_back_len330_dim1_dp_op_CI_CI ; -- Begin function bluestein_single_back_len330_dim1_dp_op_CI_CI
	.globl	bluestein_single_back_len330_dim1_dp_op_CI_CI
	.p2align	8
	.type	bluestein_single_back_len330_dim1_dp_op_CI_CI,@function
bluestein_single_back_len330_dim1_dp_op_CI_CI: ; @bluestein_single_back_len330_dim1_dp_op_CI_CI
; %bb.0:
	s_load_b128 s[8:11], s[0:1], 0x28
	v_mul_u32_u24_e32 v1, 0x7c2, v0
	s_mov_b32 s2, exec_lo
	s_delay_alu instid0(VALU_DEP_1) | instskip(NEXT) | instid1(VALU_DEP_1)
	v_lshrrev_b32_e32 v1, 16, v1
	v_mad_co_u64_u32 v[120:121], null, ttmp9, 3, v[1:2]
	v_mov_b32_e32 v121, 0
	s_wait_kmcnt 0x0
	s_delay_alu instid0(VALU_DEP_1)
	v_cmpx_gt_u64_e64 s[8:9], v[120:121]
	s_cbranch_execz .LBB0_23
; %bb.1:
	v_mul_hi_u32 v2, 0xaaaaaaab, v120
	s_clause 0x1
	s_load_b64 s[12:13], s[0:1], 0x0
	s_load_b64 s[8:9], s[0:1], 0x38
	v_mul_lo_u16 v1, v1, 33
	s_delay_alu instid0(VALU_DEP_1) | instskip(NEXT) | instid1(VALU_DEP_3)
	v_sub_nc_u16 v0, v0, v1
	v_lshrrev_b32_e32 v2, 1, v2
	s_delay_alu instid0(VALU_DEP_2) | instskip(NEXT) | instid1(VALU_DEP_2)
	v_and_b32_e32 v181, 0xffff, v0
	v_lshl_add_u32 v2, v2, 1, v2
	v_cmp_gt_u16_e32 vcc_lo, 30, v0
	s_delay_alu instid0(VALU_DEP_3) | instskip(NEXT) | instid1(VALU_DEP_3)
	v_lshlrev_b32_e32 v182, 4, v181
	v_sub_nc_u32_e32 v1, v120, v2
	s_delay_alu instid0(VALU_DEP_1) | instskip(NEXT) | instid1(VALU_DEP_1)
	v_mul_u32_u24_e32 v183, 0x14a, v1
	v_lshlrev_b32_e32 v184, 4, v183
	s_and_saveexec_b32 s3, vcc_lo
	s_cbranch_execz .LBB0_3
; %bb.2:
	s_load_b64 s[4:5], s[0:1], 0x18
	s_wait_kmcnt 0x0
	s_load_b128 s[4:7], s[4:5], 0x0
	s_wait_kmcnt 0x0
	v_mad_co_u64_u32 v[8:9], null, s4, v181, 0
	v_mad_co_u64_u32 v[0:1], null, s6, v120, 0
	s_delay_alu instid0(VALU_DEP_2) | instskip(NEXT) | instid1(VALU_DEP_1)
	v_mov_b32_e32 v2, v9
	v_mad_co_u64_u32 v[3:4], null, s7, v120, v[1:2]
	s_delay_alu instid0(VALU_DEP_1) | instskip(SKIP_2) | instid1(VALU_DEP_2)
	v_mov_b32_e32 v1, v3
	v_mad_co_u64_u32 v[4:5], null, s5, v181, v[2:3]
	s_mul_u64 s[4:5], s[4:5], 0x1e0
	v_lshlrev_b64_e32 v[10:11], 4, v[0:1]
	s_delay_alu instid0(VALU_DEP_2) | instskip(SKIP_4) | instid1(VALU_DEP_1)
	v_mov_b32_e32 v9, v4
	s_clause 0x1
	global_load_b128 v[0:3], v182, s[12:13]
	global_load_b128 v[4:7], v182, s[12:13] offset:480
	v_add_co_u32 v18, s2, s10, v10
	v_add_co_ci_u32_e64 v19, s2, s11, v11, s2
	v_lshlrev_b64_e32 v[16:17], 4, v[8:9]
	s_clause 0x1
	global_load_b128 v[8:11], v182, s[12:13] offset:960
	global_load_b128 v[12:15], v182, s[12:13] offset:1440
	v_add_co_u32 v32, s2, v18, v16
	s_wait_alu 0xf1ff
	v_add_co_ci_u32_e64 v33, s2, v19, v17, s2
	s_clause 0x1
	global_load_b128 v[16:19], v182, s[12:13] offset:1920
	global_load_b128 v[20:23], v182, s[12:13] offset:2400
	s_wait_alu 0xfffe
	v_add_co_u32 v36, s2, v32, s4
	s_wait_alu 0xf1ff
	v_add_co_ci_u32_e64 v37, s2, s5, v33, s2
	s_clause 0x1
	global_load_b128 v[24:27], v182, s[12:13] offset:2880
	global_load_b128 v[28:31], v182, s[12:13] offset:3360
	v_add_co_u32 v40, s2, v36, s4
	s_wait_alu 0xf1ff
	v_add_co_ci_u32_e64 v41, s2, s5, v37, s2
	s_clause 0x1
	global_load_b128 v[32:35], v[32:33], off
	global_load_b128 v[36:39], v[36:37], off
	v_add_co_u32 v44, s2, v40, s4
	s_wait_alu 0xf1ff
	v_add_co_ci_u32_e64 v45, s2, s5, v41, s2
	s_delay_alu instid0(VALU_DEP_2) | instskip(SKIP_1) | instid1(VALU_DEP_2)
	v_add_co_u32 v48, s2, v44, s4
	s_wait_alu 0xf1ff
	v_add_co_ci_u32_e64 v49, s2, s5, v45, s2
	s_clause 0x1
	global_load_b128 v[40:43], v[40:41], off
	global_load_b128 v[44:47], v[44:45], off
	v_add_co_u32 v52, s2, v48, s4
	s_wait_alu 0xf1ff
	v_add_co_ci_u32_e64 v53, s2, s5, v49, s2
	global_load_b128 v[48:51], v[48:49], off
	v_add_co_u32 v56, s2, v52, s4
	s_wait_alu 0xf1ff
	v_add_co_ci_u32_e64 v57, s2, s5, v53, s2
	;; [unrolled: 4-line block ×6, first 2 shown]
	s_clause 0x1
	global_load_b128 v[68:71], v182, s[12:13] offset:3840
	global_load_b128 v[72:75], v182, s[12:13] offset:4320
	global_load_b128 v[76:79], v[76:77], off
	global_load_b128 v[80:83], v182, s[12:13] offset:4800
	global_load_b128 v[84:87], v[84:85], off
	s_wait_loadcnt 0xd
	v_mul_f64_e32 v[88:89], v[34:35], v[2:3]
	v_mul_f64_e32 v[2:3], v[32:33], v[2:3]
	s_wait_loadcnt 0xc
	v_mul_f64_e32 v[90:91], v[38:39], v[6:7]
	v_mul_f64_e32 v[6:7], v[36:37], v[6:7]
	;; [unrolled: 3-line block ×11, first 2 shown]
	v_fma_f64 v[30:31], v[32:33], v[0:1], v[88:89]
	v_fma_f64 v[32:33], v[34:35], v[0:1], -v[2:3]
	v_fma_f64 v[0:1], v[36:37], v[4:5], v[90:91]
	v_fma_f64 v[2:3], v[38:39], v[4:5], -v[6:7]
	;; [unrolled: 2-line block ×8, first 2 shown]
	v_lshl_add_u32 v28, v181, 4, v184
	v_add_nc_u32_e32 v29, v184, v182
	v_fma_f64 v[34:35], v[64:65], v[68:69], v[106:107]
	v_fma_f64 v[36:37], v[66:67], v[68:69], -v[70:71]
	v_fma_f64 v[38:39], v[76:77], v[72:73], v[108:109]
	v_fma_f64 v[40:41], v[78:79], v[72:73], -v[74:75]
	;; [unrolled: 2-line block ×3, first 2 shown]
	ds_store_b128 v28, v[30:33]
	ds_store_b128 v29, v[0:3] offset:480
	ds_store_b128 v29, v[4:7] offset:960
	;; [unrolled: 1-line block ×10, first 2 shown]
.LBB0_3:
	s_or_b32 exec_lo, exec_lo, s3
	s_load_b64 s[4:5], s[0:1], 0x20
	global_wb scope:SCOPE_SE
	s_wait_dscnt 0x0
	s_wait_kmcnt 0x0
	s_barrier_signal -1
	s_barrier_wait -1
	global_inv scope:SCOPE_SE
                                        ; implicit-def: $vgpr4_vgpr5
                                        ; implicit-def: $vgpr32_vgpr33
                                        ; implicit-def: $vgpr36_vgpr37
                                        ; implicit-def: $vgpr40_vgpr41
                                        ; implicit-def: $vgpr28_vgpr29
                                        ; implicit-def: $vgpr24_vgpr25
                                        ; implicit-def: $vgpr20_vgpr21
                                        ; implicit-def: $vgpr16_vgpr17
                                        ; implicit-def: $vgpr12_vgpr13
                                        ; implicit-def: $vgpr8_vgpr9
                                        ; implicit-def: $vgpr0_vgpr1
	s_and_saveexec_b32 s2, vcc_lo
	s_cbranch_execz .LBB0_5
; %bb.4:
	v_lshl_add_u32 v0, v183, 4, v182
	ds_load_b128 v[4:7], v0
	ds_load_b128 v[32:35], v0 offset:480
	ds_load_b128 v[36:39], v0 offset:960
	;; [unrolled: 1-line block ×10, first 2 shown]
.LBB0_5:
	s_wait_alu 0xfffe
	s_or_b32 exec_lo, exec_lo, s2
	s_wait_dscnt 0x0
	v_add_f64_e64 v[92:93], v[34:35], -v[2:3]
	v_add_f64_e64 v[62:63], v[32:33], -v[0:1]
	s_mov_b32 s6, 0xf8bb580b
	s_mov_b32 s7, 0xbfe14ced
	v_add_f64_e32 v[60:61], v[32:33], v[0:1]
	v_add_f64_e32 v[96:97], v[34:35], v[2:3]
	v_add_f64_e64 v[90:91], v[38:39], -v[10:11]
	v_add_f64_e64 v[66:67], v[36:37], -v[8:9]
	s_mov_b32 s10, 0x8764f0ba
	s_mov_b32 s14, 0x8eee2c13
	s_mov_b32 s11, 0x3feaeb8c
	s_mov_b32 s15, 0xbfed1bb4
	v_add_f64_e32 v[64:65], v[36:37], v[8:9]
	v_add_f64_e32 v[98:99], v[38:39], v[10:11]
	v_add_f64_e64 v[100:101], v[42:43], -v[14:15]
	v_add_f64_e64 v[58:59], v[40:41], -v[12:13]
	s_mov_b32 s16, 0xd9c712b6
	s_mov_b32 s18, 0x43842ef
	;; [unrolled: 8-line block ×3, first 2 shown]
	s_mov_b32 s23, 0xbfc2375f
	s_mov_b32 s21, 0xbfe82f19
	v_add_f64_e32 v[50:51], v[28:29], v[16:17]
	v_add_f64_e32 v[104:105], v[30:31], v[18:19]
	v_add_f64_e64 v[94:95], v[26:27], -v[22:23]
	s_mov_b32 s24, 0x7f775887
	s_mov_b32 s26, 0xfd768dbf
	;; [unrolled: 1-line block ×4, first 2 shown]
	v_add_f64_e32 v[106:107], v[26:27], v[22:23]
	s_mov_b32 s28, 0x9bcd5057
	s_mov_b32 s29, 0xbfeeb42a
	s_wait_alu 0xfffe
	v_mul_f64_e32 v[76:77], s[6:7], v[92:93]
	v_mul_f64_e32 v[82:83], s[6:7], v[62:63]
	s_load_b64 s[2:3], s[0:1], 0x8
	v_mul_lo_u16 v185, v181, 11
	global_wb scope:SCOPE_SE
	s_wait_kmcnt 0x0
	s_barrier_signal -1
	v_mul_f64_e32 v[84:85], s[14:15], v[90:91]
	v_mul_f64_e32 v[86:87], s[14:15], v[66:67]
	s_barrier_wait -1
	global_inv scope:SCOPE_SE
	v_mul_f64_e32 v[78:79], s[18:19], v[100:101]
	v_mul_f64_e32 v[80:81], s[18:19], v[58:59]
	;; [unrolled: 1-line block ×4, first 2 shown]
	v_fma_f64 v[44:45], v[60:61], s[10:11], v[76:77]
	v_fma_f64 v[46:47], v[96:97], s[10:11], -v[82:83]
	v_fma_f64 v[52:53], v[64:65], s[16:17], v[84:85]
	v_fma_f64 v[56:57], v[98:99], s[16:17], -v[86:87]
	v_fma_f64 v[70:71], v[54:55], s[22:23], v[78:79]
	v_fma_f64 v[108:109], v[102:103], s[22:23], -v[80:81]
	v_fma_f64 v[114:115], v[104:105], s[24:25], -v[74:75]
	v_fma_f64 v[112:113], v[50:51], s[24:25], v[72:73]
	v_add_f64_e32 v[68:69], v[4:5], v[44:45]
	v_add_f64_e32 v[46:47], v[6:7], v[46:47]
	v_add_f64_e64 v[44:45], v[24:25], -v[20:21]
	s_delay_alu instid0(VALU_DEP_3) | instskip(NEXT) | instid1(VALU_DEP_3)
	v_add_f64_e32 v[68:69], v[52:53], v[68:69]
	v_add_f64_e32 v[110:111], v[56:57], v[46:47]
	;; [unrolled: 1-line block ×3, first 2 shown]
	v_mul_f64_e32 v[52:53], s[26:27], v[94:95]
	v_mul_f64_e32 v[56:57], s[26:27], v[44:45]
	v_add_f64_e32 v[68:69], v[70:71], v[68:69]
	v_add_f64_e32 v[70:71], v[108:109], v[110:111]
	s_delay_alu instid0(VALU_DEP_4) | instskip(NEXT) | instid1(VALU_DEP_4)
	v_fma_f64 v[108:109], v[46:47], s[28:29], v[52:53]
	v_fma_f64 v[110:111], v[106:107], s[28:29], -v[56:57]
	s_delay_alu instid0(VALU_DEP_4) | instskip(NEXT) | instid1(VALU_DEP_4)
	v_add_f64_e32 v[68:69], v[112:113], v[68:69]
	v_add_f64_e32 v[70:71], v[114:115], v[70:71]
	s_delay_alu instid0(VALU_DEP_2) | instskip(NEXT) | instid1(VALU_DEP_2)
	v_add_f64_e32 v[68:69], v[108:109], v[68:69]
	v_add_f64_e32 v[70:71], v[110:111], v[70:71]
	s_and_saveexec_b32 s33, vcc_lo
	s_cbranch_execz .LBB0_7
; %bb.6:
	v_add_f64_e32 v[34:35], v[6:7], v[34:35]
	v_add_f64_e32 v[32:33], v[4:5], v[32:33]
	v_mul_f64_e32 v[129:130], s[28:29], v[96:97]
	v_mul_f64_e32 v[133:134], s[26:27], v[92:93]
	;; [unrolled: 1-line block ×7, first 2 shown]
	s_mov_b32 s31, 0x3fefac9e
	s_mov_b32 s30, s18
	;; [unrolled: 1-line block ×8, first 2 shown]
	v_mul_f64_e32 v[108:109], s[16:17], v[64:65]
	v_mul_f64_e32 v[110:111], s[16:17], v[98:99]
	;; [unrolled: 1-line block ×10, first 2 shown]
	s_mov_b32 s37, 0x3fed1bb4
	s_mov_b32 s36, s14
	v_mul_f64_e32 v[112:113], s[22:23], v[54:55]
	v_mul_f64_e32 v[125:126], s[24:25], v[102:103]
	;; [unrolled: 1-line block ×9, first 2 shown]
	v_add_f64_e32 v[34:35], v[34:35], v[38:39]
	v_add_f64_e32 v[32:33], v[32:33], v[36:37]
	v_mul_f64_e32 v[38:39], s[10:11], v[96:97]
	v_mul_f64_e32 v[96:97], s[16:17], v[96:97]
	;; [unrolled: 1-line block ×3, first 2 shown]
	v_fma_f64 v[177:178], v[62:63], s[38:39], v[129:130]
	v_fma_f64 v[179:180], v[60:61], s[28:29], v[133:134]
	;; [unrolled: 1-line block ×3, first 2 shown]
	v_fma_f64 v[133:134], v[60:61], s[28:29], -v[133:134]
	s_wait_alu 0xfffe
	v_fma_f64 v[186:187], v[62:63], s[0:1], v[135:136]
	v_fma_f64 v[188:189], v[60:61], s[24:25], v[137:138]
	v_fma_f64 v[190:191], v[62:63], s[18:19], v[141:142]
	v_fma_f64 v[194:195], v[60:61], s[16:17], -v[143:144]
	v_fma_f64 v[196:197], v[60:61], s[22:23], -v[92:93]
	v_fma_f64 v[135:136], v[62:63], s[20:21], v[135:136]
	v_fma_f64 v[137:138], v[60:61], s[24:25], -v[137:138]
	v_fma_f64 v[141:142], v[62:63], s[30:31], v[141:142]
	v_fma_f64 v[92:93], v[60:61], s[22:23], v[92:93]
	;; [unrolled: 1-line block ×3, first 2 shown]
	v_add_f64_e32 v[86:87], v[86:87], v[110:111]
	v_add_f64_e64 v[84:85], v[108:109], -v[84:85]
	v_mul_f64_e32 v[147:148], s[28:29], v[104:105]
	v_fma_f64 v[143:144], v[66:67], s[0:1], v[98:99]
	v_mul_f64_e32 v[153:154], s[26:27], v[88:89]
	v_fma_f64 v[108:109], v[64:65], s[10:11], v[167:168]
	v_fma_f64 v[110:111], v[64:65], s[10:11], -v[167:168]
	v_fma_f64 v[167:168], v[64:65], s[28:29], v[90:91]
	v_mul_f64_e32 v[163:164], s[6:7], v[88:89]
	v_mul_f64_e32 v[173:174], s[36:37], v[88:89]
	;; [unrolled: 1-line block ×3, first 2 shown]
	v_add_f64_e64 v[78:79], v[112:113], -v[78:79]
	v_mul_f64_e32 v[118:119], s[28:29], v[106:107]
	v_mul_f64_e32 v[121:122], s[22:23], v[106:107]
	;; [unrolled: 1-line block ×3, first 2 shown]
	v_fma_f64 v[112:113], v[54:55], s[16:17], -v[171:172]
	v_mul_f64_e32 v[145:146], s[16:17], v[106:107]
	v_mul_f64_e32 v[157:158], s[24:25], v[106:107]
	;; [unrolled: 1-line block ×3, first 2 shown]
	v_add_f64_e32 v[34:35], v[34:35], v[42:43]
	v_add_f64_e32 v[32:33], v[32:33], v[40:41]
	;; [unrolled: 1-line block ×3, first 2 shown]
	v_fma_f64 v[192:193], v[62:63], s[14:15], v[96:97]
	v_fma_f64 v[62:63], v[62:63], s[36:37], v[96:97]
	v_mul_f64_e32 v[40:41], s[22:23], v[102:103]
	v_fma_f64 v[82:83], v[66:67], s[30:31], v[151:152]
	v_fma_f64 v[96:97], v[66:67], s[26:27], v[159:160]
	v_add_f64_e32 v[129:130], v[6:7], v[129:130]
	v_add_f64_e32 v[133:134], v[4:5], v[133:134]
	v_mul_f64_e32 v[42:43], s[24:25], v[50:51]
	v_mul_f64_e32 v[106:107], s[10:11], v[106:107]
	;; [unrolled: 1-line block ×4, first 2 shown]
	v_add_f64_e32 v[135:136], v[6:7], v[135:136]
	v_add_f64_e32 v[137:138], v[4:5], v[137:138]
	;; [unrolled: 1-line block ×6, first 2 shown]
	v_mul_f64_e32 v[116:117], s[28:29], v[46:47]
	v_fma_f64 v[114:115], v[50:51], s[22:23], v[88:89]
	v_add_f64_e32 v[56:57], v[56:57], v[118:119]
	v_add_f64_e32 v[30:31], v[34:35], v[30:31]
	;; [unrolled: 1-line block ×3, first 2 shown]
	v_mul_f64_e32 v[34:35], s[16:17], v[102:103]
	v_mul_f64_e32 v[102:103], s[28:29], v[102:103]
	v_add_f64_e32 v[62:63], v[6:7], v[62:63]
	v_mul_f64_e32 v[32:33], s[10:11], v[104:105]
	v_mul_f64_e32 v[104:105], s[22:23], v[104:105]
	v_add_f64_e32 v[40:41], v[80:81], v[40:41]
	v_fma_f64 v[80:81], v[54:55], s[16:17], v[171:172]
	v_fma_f64 v[171:172], v[54:55], s[28:29], v[100:101]
	v_add_f64_e64 v[42:43], v[42:43], -v[72:73]
	v_fma_f64 v[72:73], v[50:51], s[16:17], v[173:174]
	v_add_f64_e32 v[82:83], v[82:83], v[135:136]
	v_fma_f64 v[135:136], v[50:51], s[10:11], v[163:164]
	v_add_f64_e32 v[96:97], v[96:97], v[141:142]
	v_add_f64_e32 v[92:93], v[167:168], v[92:93]
	v_add_f64_e64 v[52:53], v[116:117], -v[52:53]
	v_add_f64_e32 v[26:27], v[30:31], v[26:27]
	v_add_f64_e32 v[24:25], v[28:29], v[24:25]
	v_add_f64_e64 v[28:29], v[36:37], -v[76:77]
	v_fma_f64 v[30:31], v[66:67], s[6:7], v[127:128]
	v_fma_f64 v[36:37], v[66:67], s[34:35], v[127:128]
	;; [unrolled: 1-line block ×6, first 2 shown]
	v_fma_f64 v[151:152], v[64:65], s[24:25], -v[165:166]
	v_fma_f64 v[159:160], v[64:65], s[22:23], v[169:170]
	v_fma_f64 v[165:166], v[64:65], s[22:23], -v[169:170]
	v_fma_f64 v[64:65], v[64:65], s[28:29], -v[90:91]
	v_add_f64_e32 v[90:91], v[6:7], v[177:178]
	v_add_f64_e32 v[169:170], v[4:5], v[179:180]
	v_add_f64_e32 v[177:178], v[6:7], v[186:187]
	v_add_f64_e32 v[179:180], v[4:5], v[188:189]
	v_add_f64_e32 v[186:187], v[6:7], v[190:191]
	v_add_f64_e32 v[188:189], v[6:7], v[192:193]
	v_add_f64_e32 v[190:191], v[4:5], v[194:195]
	v_add_f64_e32 v[192:193], v[4:5], v[196:197]
	v_add_f64_e32 v[6:7], v[6:7], v[38:39]
	v_fma_f64 v[38:39], v[54:55], s[24:25], -v[139:140]
	v_fma_f64 v[194:195], v[58:59], s[26:27], v[102:103]
	v_add_f64_e32 v[62:63], v[143:144], v[62:63]
	v_fma_f64 v[141:142], v[48:49], s[18:19], v[104:105]
	v_add_f64_e32 v[80:81], v[80:81], v[92:93]
	;; [unrolled: 2-line block ×3, first 2 shown]
	v_add_f64_e32 v[20:21], v[24:25], v[20:21]
	v_add_f64_e32 v[4:5], v[4:5], v[28:29]
	v_fma_f64 v[24:25], v[58:59], s[0:1], v[125:126]
	v_fma_f64 v[26:27], v[54:55], s[24:25], v[139:140]
	v_fma_f64 v[28:29], v[58:59], s[20:21], v[125:126]
	v_fma_f64 v[125:126], v[58:59], s[34:35], v[149:150]
	v_fma_f64 v[139:140], v[58:59], s[6:7], v[149:150]
	v_fma_f64 v[149:150], v[58:59], s[14:15], v[34:35]
	v_fma_f64 v[34:35], v[58:59], s[36:37], v[34:35]
	v_fma_f64 v[58:59], v[58:59], s[38:39], v[102:103]
	v_fma_f64 v[102:103], v[54:55], s[10:11], v[155:156]
	v_fma_f64 v[155:156], v[54:55], s[10:11], -v[155:156]
	v_fma_f64 v[54:55], v[54:55], s[28:29], -v[100:101]
	v_add_f64_e32 v[30:31], v[30:31], v[90:91]
	v_add_f64_e32 v[90:91], v[108:109], v[169:170]
	;; [unrolled: 1-line block ×13, first 2 shown]
	v_fma_f64 v[86:87], v[50:51], s[28:29], v[153:154]
	v_fma_f64 v[98:99], v[48:49], s[26:27], v[147:148]
	;; [unrolled: 1-line block ×4, first 2 shown]
	v_fma_f64 v[137:138], v[50:51], s[10:11], -v[163:164]
	v_add_f64_e32 v[62:63], v[194:195], v[62:63]
	v_add_f64_e32 v[18:19], v[22:23], v[18:19]
	;; [unrolled: 1-line block ×4, first 2 shown]
	v_fma_f64 v[20:21], v[48:49], s[14:15], v[123:124]
	v_fma_f64 v[22:23], v[48:49], s[36:37], v[123:124]
	;; [unrolled: 1-line block ×3, first 2 shown]
	v_fma_f64 v[123:124], v[50:51], s[28:29], -v[153:154]
	v_fma_f64 v[48:49], v[48:49], s[30:31], v[104:105]
	v_fma_f64 v[104:105], v[50:51], s[16:17], -v[173:174]
	v_fma_f64 v[50:51], v[50:51], s[22:23], -v[88:89]
	v_fma_f64 v[88:89], v[44:45], s[14:15], v[145:146]
	v_add_f64_e32 v[24:25], v[24:25], v[30:31]
	v_add_f64_e32 v[26:27], v[26:27], v[90:91]
	;; [unrolled: 1-line block ×15, first 2 shown]
	v_fma_f64 v[40:41], v[44:45], s[18:19], v[121:122]
	v_fma_f64 v[90:91], v[44:45], s[36:37], v[145:146]
	;; [unrolled: 1-line block ×4, first 2 shown]
	v_fma_f64 v[102:103], v[46:47], s[24:25], -v[161:162]
	v_fma_f64 v[108:109], v[44:45], s[6:7], v[106:107]
	v_fma_f64 v[110:111], v[46:47], s[16:17], -v[175:176]
	v_fma_f64 v[112:113], v[46:47], s[10:11], v[94:95]
	v_add_f64_e32 v[62:63], v[141:142], v[62:63]
	v_add_f64_e32 v[14:15], v[18:19], v[14:15]
	;; [unrolled: 1-line block ×4, first 2 shown]
	v_fma_f64 v[16:17], v[44:45], s[30:31], v[121:122]
	v_fma_f64 v[18:19], v[46:47], s[22:23], v[131:132]
	v_fma_f64 v[78:79], v[46:47], s[22:23], -v[131:132]
	v_fma_f64 v[44:45], v[44:45], s[34:35], v[106:107]
	v_fma_f64 v[106:107], v[46:47], s[16:17], v[175:176]
	v_fma_f64 v[46:47], v[46:47], s[10:11], -v[94:95]
	v_add_f64_e32 v[20:21], v[20:21], v[24:25]
	v_add_f64_e32 v[24:25], v[72:73], v[26:27]
	;; [unrolled: 1-line block ×36, first 2 shown]
	v_and_b32_e32 v40, 0xffff, v185
	s_delay_alu instid0(VALU_DEP_1)
	v_add_lshl_u32 v40, v183, v40, 4
	v_add_f64_e32 v[2:3], v[66:67], v[2:3]
	v_add_f64_e32 v[0:1], v[72:73], v[0:1]
	;; [unrolled: 1-line block ×3, first 2 shown]
	ds_store_b128 v40, v[24:27] offset:32
	ds_store_b128 v40, v[20:23] offset:48
	;; [unrolled: 1-line block ×8, first 2 shown]
	ds_store_b128 v40, v[0:3]
	ds_store_b128 v40, v[36:39] offset:16
	ds_store_b128 v40, v[68:71] offset:160
.LBB0_7:
	s_or_b32 exec_lo, exec_lo, s33
	v_and_b32_e32 v0, 0xff, v181
	s_load_b128 s[4:7], s[4:5], 0x0
	global_wb scope:SCOPE_SE
	s_wait_dscnt 0x0
	s_wait_kmcnt 0x0
	s_barrier_signal -1
	s_barrier_wait -1
	v_mul_lo_u16 v0, 0x75, v0
	global_inv scope:SCOPE_SE
	v_add_lshl_u32 v186, v183, v181, 4
	s_mov_b32 s10, 0x134454ff
	s_mov_b32 s11, 0x3fee6f0e
	v_lshrrev_b16 v0, 8, v0
	s_mov_b32 s1, 0xbfee6f0e
	s_wait_alu 0xfffe
	s_mov_b32 s0, s10
	s_mov_b32 s16, 0x4755a5e
	;; [unrolled: 1-line block ×3, first 2 shown]
	v_sub_nc_u16 v1, v181, v0
	s_mov_b32 s15, 0xbfe2cf23
	s_wait_alu 0xfffe
	s_mov_b32 s14, s16
	s_mov_b32 s18, 0x372fe950
	;; [unrolled: 1-line block ×3, first 2 shown]
	v_lshrrev_b16 v1, 1, v1
	s_mov_b32 s20, 0x9b97f4a8
	s_mov_b32 s21, 0x3fe9e377
	s_delay_alu instid0(VALU_DEP_1) | instskip(NEXT) | instid1(VALU_DEP_1)
	v_and_b32_e32 v1, 0x7f, v1
	v_add_nc_u16 v0, v1, v0
	s_delay_alu instid0(VALU_DEP_1) | instskip(NEXT) | instid1(VALU_DEP_1)
	v_lshrrev_b16 v24, 3, v0
	v_mul_lo_u16 v0, v24, 11
	v_and_b32_e32 v24, 0xffff, v24
	s_delay_alu instid0(VALU_DEP_2) | instskip(NEXT) | instid1(VALU_DEP_2)
	v_sub_nc_u16 v0, v181, v0
	v_mul_u32_u24_e32 v24, 0x6e, v24
	s_delay_alu instid0(VALU_DEP_2) | instskip(NEXT) | instid1(VALU_DEP_1)
	v_and_b32_e32 v25, 0xff, v0
	v_mad_co_u64_u32 v[4:5], null, 0x90, v25, s[2:3]
	s_delay_alu instid0(VALU_DEP_3)
	v_add_nc_u32_e32 v24, v24, v25
	s_clause 0x8
	global_load_b128 v[20:23], v[4:5], off offset:32
	global_load_b128 v[36:39], v[4:5], off offset:64
	;; [unrolled: 1-line block ×4, first 2 shown]
	global_load_b128 v[0:3], v[4:5], off
	global_load_b128 v[16:19], v[4:5], off offset:16
	global_load_b128 v[12:15], v[4:5], off offset:48
	;; [unrolled: 1-line block ×4, first 2 shown]
	ds_load_b128 v[26:29], v186 offset:1584
	ds_load_b128 v[44:47], v186 offset:2640
	;; [unrolled: 1-line block ×6, first 2 shown]
	v_add_lshl_u32 v188, v183, v24, 4
	s_wait_loadcnt_dscnt 0x805
	v_mul_f64_e32 v[30:31], v[28:29], v[22:23]
	s_wait_loadcnt_dscnt 0x704
	v_mul_f64_e32 v[66:67], v[46:47], v[38:39]
	v_mul_f64_e32 v[72:73], v[44:45], v[38:39]
	s_wait_loadcnt_dscnt 0x603
	v_mul_f64_e32 v[74:75], v[48:49], v[34:35]
	s_wait_loadcnt_dscnt 0x502
	v_mul_f64_e32 v[76:77], v[52:53], v[42:43]
	v_mul_f64_e32 v[78:79], v[54:55], v[42:43]
	;; [unrolled: 1-line block ×4, first 2 shown]
	s_wait_loadcnt_dscnt 0x401
	v_mul_f64_e32 v[82:83], v[58:59], v[2:3]
	v_mul_f64_e32 v[84:85], v[56:57], v[2:3]
	v_fma_f64 v[30:31], v[26:27], v[20:21], -v[30:31]
	v_fma_f64 v[66:67], v[44:45], v[36:37], -v[66:67]
	v_fma_f64 v[72:73], v[46:47], v[36:37], v[72:73]
	v_fma_f64 v[74:75], v[50:51], v[32:33], v[74:75]
	v_fma_f64 v[54:55], v[54:55], v[40:41], v[76:77]
	v_fma_f64 v[52:53], v[52:53], v[40:41], -v[78:79]
	v_fma_f64 v[76:77], v[48:49], v[32:33], -v[80:81]
	v_fma_f64 v[64:65], v[28:29], v[20:21], v[64:65]
	ds_load_b128 v[26:29], v186 offset:2112
	ds_load_b128 v[44:47], v186 offset:3168
	;; [unrolled: 1-line block ×3, first 2 shown]
	s_wait_loadcnt_dscnt 0x303
	v_mul_f64_e32 v[78:79], v[62:63], v[18:19]
	v_mul_f64_e32 v[80:81], v[60:61], v[18:19]
	v_fma_f64 v[56:57], v[56:57], v[0:1], -v[82:83]
	v_fma_f64 v[58:59], v[58:59], v[0:1], v[84:85]
	s_wait_loadcnt_dscnt 0x202
	v_mul_f64_e32 v[86:87], v[28:29], v[14:15]
	v_mul_f64_e32 v[88:89], v[26:27], v[14:15]
	s_wait_loadcnt_dscnt 0x101
	v_mul_f64_e32 v[90:91], v[46:47], v[10:11]
	s_wait_loadcnt_dscnt 0x0
	v_mul_f64_e32 v[92:93], v[50:51], v[6:7]
	v_mul_f64_e32 v[94:95], v[44:45], v[10:11]
	;; [unrolled: 1-line block ×3, first 2 shown]
	v_add_f64_e64 v[106:107], v[30:31], -v[66:67]
	v_add_f64_e64 v[110:111], v[66:67], -v[30:31]
	v_add_f64_e32 v[82:83], v[72:73], v[74:75]
	v_add_f64_e64 v[116:117], v[54:55], -v[74:75]
	v_add_f64_e32 v[98:99], v[30:31], v[52:53]
	v_add_f64_e32 v[100:101], v[66:67], v[76:77]
	;; [unrolled: 1-line block ×3, first 2 shown]
	v_add_f64_e64 v[108:109], v[52:53], -v[76:77]
	v_fma_f64 v[60:61], v[60:61], v[16:17], -v[78:79]
	v_fma_f64 v[62:63], v[62:63], v[16:17], v[80:81]
	v_add_f64_e64 v[112:113], v[76:77], -v[52:53]
	v_add_f64_e64 v[114:115], v[64:65], -v[72:73]
	;; [unrolled: 1-line block ×4, first 2 shown]
	v_fma_f64 v[78:79], v[26:27], v[12:13], -v[86:87]
	v_fma_f64 v[80:81], v[28:29], v[12:13], v[88:89]
	v_fma_f64 v[44:45], v[44:45], v[8:9], -v[90:91]
	v_fma_f64 v[48:49], v[48:49], v[4:5], -v[92:93]
	v_fma_f64 v[46:47], v[46:47], v[8:9], v[94:95]
	v_fma_f64 v[50:51], v[50:51], v[4:5], v[96:97]
	v_add_f64_e64 v[86:87], v[64:65], -v[54:55]
	v_add_f64_e64 v[88:89], v[72:73], -v[74:75]
	;; [unrolled: 1-line block ×4, first 2 shown]
	ds_load_b128 v[26:29], v186
	v_add_f64_e32 v[30:31], v[56:57], v[30:31]
	global_wb scope:SCOPE_SE
	s_wait_dscnt 0x0
	s_barrier_signal -1
	s_barrier_wait -1
	v_fma_f64 v[82:83], v[82:83], -0.5, v[58:59]
	global_inv scope:SCOPE_SE
	v_fma_f64 v[94:95], v[98:99], -0.5, v[56:57]
	v_fma_f64 v[96:97], v[100:101], -0.5, v[56:57]
	;; [unrolled: 1-line block ×3, first 2 shown]
	v_add_f64_e32 v[56:57], v[58:59], v[64:65]
	v_add_f64_e32 v[131:132], v[26:27], v[60:61]
	;; [unrolled: 1-line block ×7, first 2 shown]
	v_add_f64_e64 v[133:134], v[62:63], -v[50:51]
	v_add_f64_e64 v[139:140], v[60:61], -v[48:49]
	;; [unrolled: 1-line block ×4, first 2 shown]
	v_add_f64_e32 v[30:31], v[30:31], v[66:67]
	v_fma_f64 v[123:124], v[90:91], s[0:1], v[82:83]
	v_fma_f64 v[82:83], v[90:91], s[10:11], v[82:83]
	;; [unrolled: 1-line block ×8, first 2 shown]
	v_add_f64_e32 v[56:57], v[56:57], v[72:73]
	v_fma_f64 v[58:59], v[98:99], -0.5, v[26:27]
	v_fma_f64 v[26:27], v[100:101], -0.5, v[26:27]
	;; [unrolled: 1-line block ×3, first 2 shown]
	v_add_f64_e32 v[98:99], v[106:107], v[108:109]
	v_add_f64_e32 v[100:101], v[110:111], v[112:113]
	;; [unrolled: 1-line block ×3, first 2 shown]
	v_fma_f64 v[28:29], v[104:105], -0.5, v[28:29]
	v_add_f64_e32 v[104:105], v[118:119], v[121:122]
	v_add_f64_e64 v[114:115], v[50:51], -v[46:47]
	v_add_f64_e64 v[116:117], v[46:47], -v[50:51]
	v_add_f64_e32 v[30:31], v[30:31], v[76:77]
	s_wait_alu 0xfffe
	v_fma_f64 v[106:107], v[92:93], s[14:15], v[123:124]
	v_fma_f64 v[82:83], v[92:93], s[16:17], v[82:83]
	;; [unrolled: 1-line block ×8, first 2 shown]
	v_add_f64_e64 v[90:91], v[60:61], -v[78:79]
	v_add_f64_e64 v[60:61], v[78:79], -v[60:61]
	;; [unrolled: 1-line block ×4, first 2 shown]
	v_add_f64_e32 v[78:79], v[131:132], v[78:79]
	v_add_f64_e32 v[80:81], v[137:138], v[80:81]
	v_add_f64_e64 v[92:93], v[48:49], -v[44:45]
	v_add_f64_e64 v[94:95], v[44:45], -v[48:49]
	v_add_f64_e32 v[56:57], v[56:57], v[74:75]
	v_fma_f64 v[66:67], v[133:134], s[10:11], v[58:59]
	v_fma_f64 v[72:73], v[135:136], s[0:1], v[26:27]
	;; [unrolled: 1-line block ×8, first 2 shown]
	v_add_f64_e32 v[30:31], v[30:31], v[52:53]
	v_fma_f64 v[106:107], v[102:103], s[18:19], v[106:107]
	v_fma_f64 v[82:83], v[102:103], s[18:19], v[82:83]
	;; [unrolled: 1-line block ×8, first 2 shown]
	v_add_f64_e32 v[62:63], v[62:63], v[116:117]
	v_add_f64_e32 v[44:45], v[78:79], v[44:45]
	;; [unrolled: 1-line block ×6, first 2 shown]
	v_fma_f64 v[66:67], v[135:136], s[16:17], v[66:67]
	v_fma_f64 v[72:73], v[133:134], s[16:17], v[72:73]
	;; [unrolled: 1-line block ×8, first 2 shown]
	v_mul_f64_e32 v[78:79], s[16:17], v[106:107]
	v_mul_f64_e32 v[104:105], s[20:21], v[82:83]
	;; [unrolled: 1-line block ×8, first 2 shown]
	v_add_f64_e32 v[44:45], v[44:45], v[48:49]
	v_add_f64_e32 v[46:47], v[46:47], v[50:51]
	;; [unrolled: 1-line block ×3, first 2 shown]
	v_fma_f64 v[66:67], v[90:91], s[18:19], v[66:67]
	v_fma_f64 v[72:73], v[60:61], s[18:19], v[72:73]
	;; [unrolled: 1-line block ×9, first 2 shown]
	v_fma_f64 v[78:79], v[84:85], s[10:11], -v[94:95]
	v_fma_f64 v[82:83], v[82:83], s[16:17], -v[96:97]
	v_fma_f64 v[84:85], v[106:107], s[20:21], v[98:99]
	v_fma_f64 v[76:77], v[86:87], s[18:19], v[80:81]
	;; [unrolled: 1-line block ×3, first 2 shown]
	v_fma_f64 v[88:89], v[110:111], s[0:1], -v[102:103]
	v_fma_f64 v[94:95], v[112:113], s[14:15], -v[104:105]
	v_cmp_gt_u16_e64 s0, 11, v181
                                        ; implicit-def: $vgpr112_vgpr113
	v_add_f64_e32 v[26:27], v[44:45], v[30:31]
	v_add_f64_e64 v[44:45], v[44:45], -v[30:31]
	v_add_f64_e32 v[28:29], v[46:47], v[48:49]
	v_add_f64_e64 v[46:47], v[46:47], -v[48:49]
	;; [unrolled: 2-line block ×3, first 2 shown]
	v_add_f64_e32 v[56:57], v[114:115], v[78:79]
	v_add_f64_e32 v[60:61], v[90:91], v[82:83]
	;; [unrolled: 1-line block ×7, first 2 shown]
	v_add_f64_e64 v[66:67], v[74:75], -v[84:85]
	v_add_f64_e64 v[76:77], v[72:73], -v[76:77]
	;; [unrolled: 1-line block ×7, first 2 shown]
	ds_store_b128 v188, v[26:29]
	ds_store_b128 v188, v[48:51] offset:176
	ds_store_b128 v188, v[52:55] offset:352
	;; [unrolled: 1-line block ×9, first 2 shown]
	global_wb scope:SCOPE_SE
	s_wait_dscnt 0x0
	s_barrier_signal -1
	s_barrier_wait -1
	global_inv scope:SCOPE_SE
	ds_load_b128 v[80:83], v186
	ds_load_b128 v[76:79], v186 offset:528
	ds_load_b128 v[100:103], v186 offset:3520
	;; [unrolled: 1-line block ×8, first 2 shown]
	s_and_saveexec_b32 s1, s0
	s_cbranch_execz .LBB0_9
; %bb.8:
	ds_load_b128 v[72:75], v186 offset:1584
	ds_load_b128 v[68:71], v186 offset:3344
	;; [unrolled: 1-line block ×3, first 2 shown]
.LBB0_9:
	s_wait_alu 0xfffe
	s_or_b32 exec_lo, exec_lo, s1
	v_add_co_u32 v24, s1, 0x63, v181
	s_wait_alu 0xf1ff
	v_add_co_ci_u32_e64 v25, null, 0, 0, s1
	v_add_co_u32 v26, s1, v181, -11
	s_wait_alu 0xf1ff
	v_add_co_ci_u32_e64 v27, null, 0, -1, s1
	v_lshlrev_b32_e32 v28, 5, v181
	s_delay_alu instid0(VALU_DEP_3) | instskip(SKIP_1) | instid1(VALU_DEP_3)
	v_cndmask_b32_e64 v24, v26, v24, s0
	s_mov_b32 s11, 0xbfebb67a
	v_cndmask_b32_e64 v25, v27, v25, s0
	v_lshl_add_u32 v187, v181, 4, v184
	v_add_nc_u32_e32 v26, 0x420, v28
	s_clause 0x3
	global_load_b128 v[48:51], v28, s[2:3] offset:1600
	global_load_b128 v[64:67], v28, s[2:3] offset:1584
	;; [unrolled: 1-line block ×4, first 2 shown]
	v_lshlrev_b64_e32 v[24:25], 5, v[24:25]
	v_add_nc_u32_e32 v26, 0x840, v28
	v_add_nc_u32_e32 v189, v182, v184
	s_delay_alu instid0(VALU_DEP_3) | instskip(SKIP_1) | instid1(VALU_DEP_4)
	v_add_co_u32 v24, s1, s2, v24
	s_wait_alu 0xf1ff
	v_add_co_ci_u32_e64 v25, s1, s3, v25, s1
	s_clause 0x3
	global_load_b128 v[60:63], v26, s[2:3] offset:1584
	global_load_b128 v[56:59], v26, s[2:3] offset:1600
	global_load_b128 v[28:31], v[24:25], off offset:1584
	global_load_b128 v[24:27], v[24:25], off offset:1600
	s_mov_b32 s2, 0xe8584caa
	s_mov_b32 s3, 0x3febb67a
	s_wait_alu 0xfffe
	s_mov_b32 s10, s2
	s_wait_loadcnt_dscnt 0x706
	v_mul_f64_e32 v[118:119], v[102:103], v[50:51]
	s_wait_loadcnt_dscnt 0x604
	v_mul_f64_e32 v[116:117], v[110:111], v[66:67]
	v_mul_f64_e32 v[121:122], v[108:109], v[66:67]
	;; [unrolled: 1-line block ×3, first 2 shown]
	s_wait_loadcnt_dscnt 0x402
	v_mul_f64_e32 v[125:126], v[106:107], v[54:55]
	v_mul_f64_e32 v[127:128], v[90:91], v[46:47]
	;; [unrolled: 1-line block ×4, first 2 shown]
	s_wait_loadcnt_dscnt 0x301
	v_mul_f64_e32 v[133:134], v[94:95], v[62:63]
	s_wait_loadcnt_dscnt 0x200
	v_mul_f64_e32 v[135:136], v[98:99], v[58:59]
	v_mul_f64_e32 v[137:138], v[92:93], v[62:63]
	;; [unrolled: 1-line block ×3, first 2 shown]
	s_wait_loadcnt 0x1
	v_mul_f64_e32 v[141:142], v[70:71], v[30:31]
	s_wait_loadcnt 0x0
	v_mul_f64_e32 v[143:144], v[114:115], v[26:27]
	v_mul_f64_e32 v[145:146], v[68:69], v[30:31]
	;; [unrolled: 1-line block ×3, first 2 shown]
	v_fma_f64 v[100:101], v[100:101], v[48:49], -v[118:119]
	v_fma_f64 v[108:109], v[108:109], v[64:65], -v[116:117]
	v_fma_f64 v[110:111], v[110:111], v[64:65], v[121:122]
	v_fma_f64 v[102:103], v[102:103], v[48:49], v[123:124]
	v_fma_f64 v[104:105], v[104:105], v[52:53], -v[125:126]
	v_fma_f64 v[88:89], v[88:89], v[44:45], -v[127:128]
	v_fma_f64 v[106:107], v[106:107], v[52:53], v[129:130]
	v_fma_f64 v[90:91], v[90:91], v[44:45], v[131:132]
	;; [unrolled: 4-line block ×4, first 2 shown]
	v_add_f64_e32 v[112:113], v[108:109], v[100:101]
	v_add_f64_e32 v[133:134], v[80:81], v[108:109]
	;; [unrolled: 1-line block ×3, first 2 shown]
	v_add_f64_e64 v[135:136], v[110:111], -v[102:103]
	v_add_f64_e32 v[121:122], v[104:105], v[88:89]
	v_add_f64_e32 v[110:111], v[82:83], v[110:111]
	;; [unrolled: 1-line block ×5, first 2 shown]
	v_add_f64_e64 v[151:152], v[108:109], -v[100:101]
	v_add_f64_e64 v[106:107], v[106:107], -v[90:91]
	v_add_f64_e32 v[141:142], v[84:85], v[92:93]
	v_add_f64_e32 v[125:126], v[92:93], v[96:97]
	;; [unrolled: 1-line block ×8, first 2 shown]
	v_add_f64_e64 v[155:156], v[104:105], -v[88:89]
	v_add_f64_e64 v[94:95], v[94:95], -v[98:99]
	v_add_f64_e64 v[70:71], v[70:71], -v[118:119]
	v_fma_f64 v[149:150], v[112:113], -0.5, v[80:81]
	v_fma_f64 v[153:154], v[114:115], -0.5, v[82:83]
	;; [unrolled: 1-line block ×3, first 2 shown]
	v_add_f64_e32 v[76:77], v[133:134], v[100:101]
	v_fma_f64 v[123:124], v[123:124], -0.5, v[78:79]
	v_add_f64_e32 v[78:79], v[110:111], v[102:103]
	v_add_f64_e32 v[112:113], v[137:138], v[88:89]
	;; [unrolled: 1-line block ×3, first 2 shown]
	v_fma_f64 v[84:85], v[125:126], -0.5, v[84:85]
	v_add_f64_e64 v[125:126], v[92:93], -v[96:97]
	v_fma_f64 v[86:87], v[127:128], -0.5, v[86:87]
	v_add_f64_e64 v[127:128], v[68:69], -v[116:117]
	v_fma_f64 v[72:73], v[129:130], -0.5, v[72:73]
	v_add_f64_e32 v[96:97], v[141:142], v[96:97]
	v_fma_f64 v[74:75], v[131:132], -0.5, v[74:75]
	v_add_f64_e32 v[98:99], v[143:144], v[98:99]
	v_add_f64_e32 v[80:81], v[145:146], v[116:117]
	;; [unrolled: 1-line block ×3, first 2 shown]
	v_fma_f64 v[108:109], v[135:136], s[2:3], v[149:150]
	s_wait_alu 0xfffe
	v_fma_f64 v[116:117], v[135:136], s[10:11], v[149:150]
	v_fma_f64 v[110:111], v[151:152], s[10:11], v[153:154]
	;; [unrolled: 1-line block ×15, first 2 shown]
	ds_store_b128 v187, v[108:111] offset:1760
	ds_store_b128 v187, v[116:119] offset:3520
	ds_store_b128 v187, v[76:79]
	ds_store_b128 v187, v[112:115] offset:528
	ds_store_b128 v189, v[104:107] offset:2288
	;; [unrolled: 1-line block ×6, first 2 shown]
	s_and_saveexec_b32 s1, s0
	s_cbranch_execz .LBB0_11
; %bb.10:
	ds_store_b128 v187, v[80:83] offset:1584
	ds_store_b128 v187, v[84:87] offset:3344
	;; [unrolled: 1-line block ×3, first 2 shown]
.LBB0_11:
	s_wait_alu 0xfffe
	s_or_b32 exec_lo, exec_lo, s1
	global_wb scope:SCOPE_SE
	s_wait_dscnt 0x0
	s_barrier_signal -1
	s_barrier_wait -1
	global_inv scope:SCOPE_SE
	s_and_saveexec_b32 s1, vcc_lo
	s_cbranch_execz .LBB0_13
; %bb.12:
	s_add_nc_u64 s[2:3], s[12:13], 0x14a0
	s_clause 0xa
	global_load_b128 v[72:75], v182, s[12:13] offset:5280
	global_load_b128 v[121:124], v182, s[2:3] offset:480
	;; [unrolled: 1-line block ×11, first 2 shown]
	ds_load_b128 v[161:164], v187
	ds_load_b128 v[165:168], v187 offset:480
	ds_load_b128 v[169:172], v187 offset:960
	;; [unrolled: 1-line block ×10, first 2 shown]
	s_wait_loadcnt_dscnt 0xa0a
	v_mul_f64_e32 v[214:215], v[163:164], v[74:75]
	v_mul_f64_e32 v[74:75], v[161:162], v[74:75]
	s_wait_loadcnt_dscnt 0x909
	v_mul_f64_e32 v[216:217], v[167:168], v[123:124]
	v_mul_f64_e32 v[123:124], v[165:166], v[123:124]
	;; [unrolled: 3-line block ×11, first 2 shown]
	v_fma_f64 v[159:160], v[161:162], v[72:73], -v[214:215]
	v_fma_f64 v[161:162], v[163:164], v[72:73], v[74:75]
	v_fma_f64 v[72:73], v[165:166], v[121:122], -v[216:217]
	v_fma_f64 v[74:75], v[167:168], v[121:122], v[123:124]
	v_fma_f64 v[121:122], v[169:170], v[125:126], -v[218:219]
	v_fma_f64 v[123:124], v[171:172], v[125:126], v[127:128]
	v_fma_f64 v[125:126], v[173:174], v[129:130], -v[220:221]
	v_fma_f64 v[127:128], v[175:176], v[129:130], v[131:132]
	v_fma_f64 v[129:130], v[177:178], v[133:134], -v[222:223]
	v_fma_f64 v[131:132], v[179:180], v[133:134], v[135:136]
	v_fma_f64 v[133:134], v[190:191], v[137:138], -v[224:225]
	v_fma_f64 v[135:136], v[192:193], v[137:138], v[139:140]
	v_fma_f64 v[137:138], v[194:195], v[141:142], -v[226:227]
	v_fma_f64 v[139:140], v[196:197], v[141:142], v[143:144]
	v_fma_f64 v[141:142], v[198:199], v[145:146], -v[228:229]
	v_fma_f64 v[143:144], v[200:201], v[145:146], v[147:148]
	v_fma_f64 v[145:146], v[202:203], v[149:150], -v[230:231]
	v_fma_f64 v[147:148], v[204:205], v[149:150], v[151:152]
	v_fma_f64 v[149:150], v[206:207], v[153:154], -v[232:233]
	v_fma_f64 v[151:152], v[208:209], v[153:154], v[155:156]
	v_fma_f64 v[153:154], v[210:211], v[157:158], -v[234:235]
	v_fma_f64 v[155:156], v[212:213], v[157:158], v[236:237]
	ds_store_b128 v187, v[159:162]
	ds_store_b128 v187, v[72:75] offset:480
	ds_store_b128 v187, v[121:124] offset:960
	;; [unrolled: 1-line block ×10, first 2 shown]
.LBB0_13:
	s_wait_alu 0xfffe
	s_or_b32 exec_lo, exec_lo, s1
	global_wb scope:SCOPE_SE
	s_wait_dscnt 0x0
	s_barrier_signal -1
	s_barrier_wait -1
	global_inv scope:SCOPE_SE
	s_and_saveexec_b32 s1, vcc_lo
	s_cbranch_execz .LBB0_15
; %bb.14:
	ds_load_b128 v[76:79], v187
	ds_load_b128 v[108:111], v187 offset:480
	ds_load_b128 v[116:119], v187 offset:960
	;; [unrolled: 1-line block ×10, first 2 shown]
.LBB0_15:
	s_wait_alu 0xfffe
	s_or_b32 exec_lo, exec_lo, s1
	s_wait_dscnt 0x0
	v_add_f64_e64 v[171:172], v[110:111], -v[86:87]
	v_add_f64_e32 v[173:174], v[110:111], v[86:87]
	s_mov_b32 s2, 0x8764f0ba
	s_mov_b32 s16, 0xf8bb580b
	s_mov_b32 s3, 0x3feaeb8c
	s_mov_b32 s17, 0xbfe14ced
	v_add_f64_e32 v[169:170], v[108:109], v[84:85]
	v_add_f64_e64 v[175:176], v[108:109], -v[84:85]
	v_add_f64_e64 v[145:146], v[118:119], -v[82:83]
	v_add_f64_e32 v[125:126], v[118:119], v[82:83]
	s_mov_b32 s10, 0xd9c712b6
	s_mov_b32 s14, 0x8eee2c13
	s_mov_b32 s11, 0x3fda9628
	s_mov_b32 s15, 0xbfed1bb4
	v_add_f64_e32 v[121:122], v[116:117], v[80:81]
	v_add_f64_e64 v[123:124], v[116:117], -v[80:81]
	;; [unrolled: 8-line block ×3, first 2 shown]
	v_add_f64_e32 v[147:148], v[106:107], v[94:95]
	v_add_f64_e64 v[163:164], v[106:107], -v[94:95]
	s_mov_b32 s22, 0x7f775887
	s_mov_b32 s24, 0xbb3a28a1
	;; [unrolled: 1-line block ×4, first 2 shown]
	v_add_f64_e32 v[139:140], v[104:105], v[92:93]
	v_add_f64_e64 v[143:144], v[104:105], -v[92:93]
	v_add_f64_e32 v[161:162], v[102:103], v[98:99]
	v_add_f64_e64 v[165:166], v[102:103], -v[98:99]
	s_mov_b32 s26, 0x9bcd5057
	s_mov_b32 s29, 0xbfd207e7
	;; [unrolled: 1-line block ×4, first 2 shown]
	s_wait_alu 0xfffe
	v_mul_f64_e32 v[177:178], s[16:17], v[171:172]
	v_mul_f64_e32 v[179:180], s[2:3], v[173:174]
	v_add_f64_e64 v[167:168], v[100:101], -v[96:97]
	global_wb scope:SCOPE_SE
	s_barrier_signal -1
	s_barrier_wait -1
	global_inv scope:SCOPE_SE
	v_mul_f64_e32 v[127:128], s[14:15], v[145:146]
	v_mul_f64_e32 v[131:132], s[10:11], v[125:126]
	;; [unrolled: 1-line block ×7, first 2 shown]
	v_fma_f64 v[72:73], v[169:170], s[2:3], -v[177:178]
	v_fma_f64 v[74:75], v[175:176], s[16:17], v[179:180]
	v_fma_f64 v[151:152], v[121:122], s[10:11], -v[127:128]
	v_fma_f64 v[157:158], v[123:124], s[14:15], v[131:132]
	;; [unrolled: 2-line block ×3, first 2 shown]
	v_fma_f64 v[196:197], v[143:144], s[24:25], v[155:156]
	v_fma_f64 v[194:195], v[139:140], s[22:23], -v[149:150]
	v_add_f64_e32 v[72:73], v[76:77], v[72:73]
	v_add_f64_e32 v[74:75], v[78:79], v[74:75]
	s_delay_alu instid0(VALU_DEP_2) | instskip(NEXT) | instid1(VALU_DEP_2)
	v_add_f64_e32 v[72:73], v[151:152], v[72:73]
	v_add_f64_e32 v[74:75], v[157:158], v[74:75]
	;; [unrolled: 1-line block ×3, first 2 shown]
	v_mul_f64_e32 v[157:158], s[28:29], v[165:166]
	s_delay_alu instid0(VALU_DEP_4) | instskip(NEXT) | instid1(VALU_DEP_4)
	v_add_f64_e32 v[72:73], v[190:191], v[72:73]
	v_add_f64_e32 v[74:75], v[192:193], v[74:75]
	v_fma_f64 v[192:193], v[167:168], s[28:29], v[159:160]
	s_delay_alu instid0(VALU_DEP_4) | instskip(NEXT) | instid1(VALU_DEP_4)
	v_fma_f64 v[190:191], v[151:152], s[26:27], -v[157:158]
	v_add_f64_e32 v[72:73], v[194:195], v[72:73]
	s_delay_alu instid0(VALU_DEP_4) | instskip(NEXT) | instid1(VALU_DEP_2)
	v_add_f64_e32 v[74:75], v[196:197], v[74:75]
	v_add_f64_e32 v[72:73], v[190:191], v[72:73]
	s_delay_alu instid0(VALU_DEP_2)
	v_add_f64_e32 v[74:75], v[192:193], v[74:75]
	s_and_saveexec_b32 s1, vcc_lo
	s_cbranch_execz .LBB0_17
; %bb.16:
	v_add_f64_e32 v[108:109], v[76:77], v[108:109]
	v_add_f64_e32 v[110:111], v[78:79], v[110:111]
	s_mov_b32 s31, 0x3fe14ced
	s_mov_b32 s30, s16
	;; [unrolled: 1-line block ×4, first 2 shown]
	v_mul_f64_e32 v[190:191], s[20:21], v[165:166]
	s_mov_b32 s37, 0x3fefac9e
	s_mov_b32 s36, s20
	s_wait_alu 0xfffe
	v_mul_f64_e32 v[194:195], s[30:31], v[167:168]
	v_mul_f64_e32 v[192:193], s[36:37], v[163:164]
	;; [unrolled: 1-line block ×3, first 2 shown]
	v_add_f64_e32 v[108:109], v[108:109], v[116:117]
	v_add_f64_e32 v[110:111], v[110:111], v[118:119]
	v_mul_f64_e32 v[118:119], s[2:3], v[169:170]
	s_delay_alu instid0(VALU_DEP_3) | instskip(NEXT) | instid1(VALU_DEP_3)
	v_add_f64_e32 v[108:109], v[108:109], v[112:113]
	v_add_f64_e32 v[110:111], v[110:111], v[114:115]
	s_delay_alu instid0(VALU_DEP_3) | instskip(NEXT) | instid1(VALU_DEP_3)
	v_add_f64_e32 v[118:119], v[118:119], v[177:178]
	v_add_f64_e32 v[104:105], v[108:109], v[104:105]
	s_delay_alu instid0(VALU_DEP_3) | instskip(SKIP_1) | instid1(VALU_DEP_4)
	v_add_f64_e32 v[106:107], v[110:111], v[106:107]
	v_mul_f64_e32 v[108:109], s[14:15], v[171:172]
	v_add_f64_e32 v[118:119], v[76:77], v[118:119]
	s_delay_alu instid0(VALU_DEP_4) | instskip(NEXT) | instid1(VALU_DEP_4)
	v_add_f64_e32 v[100:101], v[104:105], v[100:101]
	v_add_f64_e32 v[102:103], v[106:107], v[102:103]
	v_mul_f64_e32 v[104:105], s[24:25], v[171:172]
	v_mul_f64_e32 v[106:107], s[20:21], v[171:172]
	v_fma_f64 v[116:117], v[169:170], s[10:11], v[108:109]
	v_fma_f64 v[108:109], v[169:170], s[10:11], -v[108:109]
	v_add_f64_e32 v[96:97], v[100:101], v[96:97]
	v_add_f64_e32 v[98:99], v[102:103], v[98:99]
	v_mul_f64_e32 v[102:103], s[28:29], v[171:172]
	v_fma_f64 v[112:113], v[169:170], s[22:23], -v[104:105]
	v_fma_f64 v[104:105], v[169:170], s[22:23], v[104:105]
	v_fma_f64 v[114:115], v[169:170], s[18:19], v[106:107]
	v_fma_f64 v[106:107], v[169:170], s[18:19], -v[106:107]
	v_mul_f64_e32 v[100:101], s[16:17], v[175:176]
	v_add_f64_e32 v[116:117], v[76:77], v[116:117]
	v_add_f64_e32 v[108:109], v[76:77], v[108:109]
	;; [unrolled: 1-line block ×4, first 2 shown]
	v_mul_f64_e32 v[96:97], s[14:15], v[175:176]
	v_fma_f64 v[110:111], v[169:170], s[26:27], -v[102:103]
	v_fma_f64 v[102:103], v[169:170], s[26:27], v[102:103]
	v_add_f64_e32 v[112:113], v[76:77], v[112:113]
	v_add_f64_e32 v[104:105], v[76:77], v[104:105]
	v_add_f64_e32 v[114:115], v[76:77], v[114:115]
	v_add_f64_e32 v[106:107], v[76:77], v[106:107]
	v_add_f64_e64 v[100:101], v[179:180], -v[100:101]
	v_mul_f64_e32 v[179:180], s[20:21], v[167:168]
	v_add_f64_e32 v[88:89], v[92:93], v[88:89]
	v_add_f64_e32 v[90:91], v[94:95], v[90:91]
	v_mul_f64_e32 v[92:93], s[20:21], v[175:176]
	v_fma_f64 v[98:99], v[173:174], s[10:11], -v[96:97]
	v_fma_f64 v[96:97], v[173:174], s[10:11], v[96:97]
	v_add_f64_e32 v[110:111], v[76:77], v[110:111]
	v_add_f64_e32 v[102:103], v[76:77], v[102:103]
	;; [unrolled: 1-line block ×4, first 2 shown]
	v_mul_f64_e32 v[88:89], s[24:25], v[175:176]
	v_add_f64_e32 v[82:83], v[90:91], v[82:83]
	v_fma_f64 v[94:95], v[173:174], s[18:19], -v[92:93]
	v_fma_f64 v[92:93], v[173:174], s[18:19], v[92:93]
	v_add_f64_e32 v[98:99], v[78:79], v[98:99]
	v_add_f64_e32 v[80:81], v[80:81], v[84:85]
	v_mul_f64_e32 v[84:85], s[28:29], v[175:176]
	v_fma_f64 v[90:91], v[173:174], s[22:23], v[88:89]
	v_fma_f64 v[88:89], v[173:174], s[22:23], -v[88:89]
	v_add_f64_e32 v[82:83], v[82:83], v[86:87]
	v_add_f64_e32 v[171:172], v[78:79], v[94:95]
	;; [unrolled: 1-line block ×3, first 2 shown]
	v_fma_f64 v[86:87], v[173:174], s[26:27], v[84:85]
	v_fma_f64 v[84:85], v[173:174], s[26:27], -v[84:85]
	v_add_f64_e32 v[169:170], v[78:79], v[88:89]
	v_mul_f64_e32 v[88:89], s[30:31], v[123:124]
	v_add_f64_e32 v[173:174], v[78:79], v[92:93]
	v_mul_f64_e32 v[92:93], s[24:25], v[133:134]
	v_add_f64_e32 v[90:91], v[78:79], v[90:91]
	v_add_f64_e32 v[86:87], v[78:79], v[86:87]
	;; [unrolled: 1-line block ×3, first 2 shown]
	v_fma_f64 v[76:77], v[125:126], s[2:3], v[88:89]
	v_fma_f64 v[88:89], v[125:126], s[2:3], -v[88:89]
	v_fma_f64 v[94:95], v[135:136], s[22:23], v[92:93]
	s_delay_alu instid0(VALU_DEP_3) | instskip(SKIP_1) | instid1(VALU_DEP_4)
	v_add_f64_e32 v[76:77], v[76:77], v[86:87]
	v_mul_f64_e32 v[86:87], s[30:31], v[145:146]
	v_add_f64_e32 v[84:85], v[88:89], v[84:85]
	v_fma_f64 v[88:89], v[135:136], s[22:23], -v[92:93]
	v_fma_f64 v[92:93], v[151:152], s[18:19], v[190:191]
	v_add_f64_e32 v[76:77], v[94:95], v[76:77]
	v_fma_f64 v[78:79], v[121:122], s[2:3], -v[86:87]
	v_mul_f64_e32 v[94:95], s[24:25], v[153:154]
	v_fma_f64 v[86:87], v[121:122], s[2:3], v[86:87]
	v_add_f64_e32 v[84:85], v[88:89], v[84:85]
	s_delay_alu instid0(VALU_DEP_4) | instskip(NEXT) | instid1(VALU_DEP_4)
	v_add_f64_e32 v[78:79], v[78:79], v[110:111]
	v_fma_f64 v[96:97], v[129:130], s[22:23], -v[94:95]
	s_delay_alu instid0(VALU_DEP_4) | instskip(SKIP_2) | instid1(VALU_DEP_4)
	v_add_f64_e32 v[86:87], v[86:87], v[102:103]
	v_fma_f64 v[88:89], v[129:130], s[22:23], v[94:95]
	v_mul_f64_e32 v[94:95], s[36:37], v[145:146]
	v_add_f64_e32 v[78:79], v[96:97], v[78:79]
	v_mul_f64_e32 v[96:97], s[34:35], v[143:144]
	s_delay_alu instid0(VALU_DEP_4) | instskip(NEXT) | instid1(VALU_DEP_2)
	v_add_f64_e32 v[86:87], v[88:89], v[86:87]
	v_fma_f64 v[100:101], v[147:148], s[10:11], v[96:97]
	v_fma_f64 v[88:89], v[147:148], s[10:11], -v[96:97]
	v_mul_f64_e32 v[96:97], s[16:17], v[133:134]
	s_delay_alu instid0(VALU_DEP_3) | instskip(SKIP_1) | instid1(VALU_DEP_4)
	v_add_f64_e32 v[76:77], v[100:101], v[76:77]
	v_mul_f64_e32 v[100:101], s[34:35], v[163:164]
	v_add_f64_e32 v[84:85], v[88:89], v[84:85]
	s_delay_alu instid0(VALU_DEP_2) | instskip(SKIP_3) | instid1(VALU_DEP_4)
	v_fma_f64 v[88:89], v[139:140], s[10:11], v[100:101]
	v_fma_f64 v[110:111], v[139:140], s[10:11], -v[100:101]
	v_fma_f64 v[100:101], v[135:136], s[2:3], v[96:97]
	v_fma_f64 v[96:97], v[135:136], s[2:3], -v[96:97]
	v_add_f64_e32 v[88:89], v[88:89], v[86:87]
	v_fma_f64 v[86:87], v[161:162], s[18:19], -v[179:180]
	v_add_f64_e32 v[110:111], v[110:111], v[78:79]
	v_fma_f64 v[78:79], v[161:162], s[18:19], v[179:180]
	v_mul_f64_e32 v[179:180], s[34:35], v[167:168]
	s_delay_alu instid0(VALU_DEP_4)
	v_add_f64_e32 v[86:87], v[86:87], v[84:85]
	v_add_f64_e32 v[84:85], v[92:93], v[88:89]
	v_mul_f64_e32 v[92:93], s[36:37], v[123:124]
	v_add_f64_e32 v[78:79], v[78:79], v[76:77]
	v_fma_f64 v[76:77], v[151:152], s[18:19], -v[190:191]
	v_mul_f64_e32 v[190:191], s[34:35], v[165:166]
	v_mul_f64_e32 v[165:166], s[24:25], v[165:166]
	v_fma_f64 v[88:89], v[125:126], s[18:19], v[92:93]
	v_fma_f64 v[92:93], v[125:126], s[18:19], -v[92:93]
	v_add_f64_e32 v[76:77], v[76:77], v[110:111]
	s_delay_alu instid0(VALU_DEP_3) | instskip(SKIP_1) | instid1(VALU_DEP_4)
	v_add_f64_e32 v[88:89], v[88:89], v[90:91]
	v_fma_f64 v[90:91], v[121:122], s[18:19], -v[94:95]
	v_add_f64_e32 v[92:93], v[92:93], v[169:170]
	v_fma_f64 v[94:95], v[121:122], s[18:19], v[94:95]
	s_delay_alu instid0(VALU_DEP_4) | instskip(SKIP_2) | instid1(VALU_DEP_4)
	v_add_f64_e32 v[88:89], v[100:101], v[88:89]
	v_mul_f64_e32 v[100:101], s[16:17], v[153:154]
	v_add_f64_e32 v[90:91], v[90:91], v[112:113]
	v_add_f64_e32 v[94:95], v[94:95], v[104:105]
	;; [unrolled: 1-line block ×3, first 2 shown]
	s_delay_alu instid0(VALU_DEP_4) | instskip(SKIP_2) | instid1(VALU_DEP_3)
	v_fma_f64 v[102:103], v[129:130], s[2:3], -v[100:101]
	v_fma_f64 v[96:97], v[129:130], s[2:3], v[100:101]
	v_fma_f64 v[100:101], v[151:152], s[10:11], v[190:191]
	v_add_f64_e32 v[90:91], v[102:103], v[90:91]
	v_mul_f64_e32 v[102:103], s[28:29], v[143:144]
	s_delay_alu instid0(VALU_DEP_4) | instskip(NEXT) | instid1(VALU_DEP_2)
	v_add_f64_e32 v[94:95], v[96:97], v[94:95]
	v_fma_f64 v[110:111], v[147:148], s[26:27], v[102:103]
	v_fma_f64 v[96:97], v[147:148], s[26:27], -v[102:103]
	s_delay_alu instid0(VALU_DEP_2) | instskip(SKIP_1) | instid1(VALU_DEP_3)
	v_add_f64_e32 v[88:89], v[110:111], v[88:89]
	v_mul_f64_e32 v[110:111], s[28:29], v[163:164]
	v_add_f64_e32 v[92:93], v[96:97], v[92:93]
	v_mul_f64_e32 v[163:164], s[16:17], v[163:164]
	s_delay_alu instid0(VALU_DEP_3) | instskip(SKIP_2) | instid1(VALU_DEP_3)
	v_fma_f64 v[112:113], v[139:140], s[26:27], -v[110:111]
	v_fma_f64 v[96:97], v[139:140], s[26:27], v[110:111]
	v_mul_f64_e32 v[110:111], s[24:25], v[123:124]
	v_add_f64_e32 v[112:113], v[112:113], v[90:91]
	v_fma_f64 v[90:91], v[161:162], s[10:11], v[179:180]
	s_delay_alu instid0(VALU_DEP_4) | instskip(SKIP_1) | instid1(VALU_DEP_3)
	v_add_f64_e32 v[96:97], v[96:97], v[94:95]
	v_fma_f64 v[94:95], v[161:162], s[10:11], -v[179:180]
	v_add_f64_e32 v[90:91], v[90:91], v[88:89]
	v_fma_f64 v[88:89], v[151:152], s[10:11], -v[190:191]
	s_delay_alu instid0(VALU_DEP_3)
	v_add_f64_e32 v[94:95], v[94:95], v[92:93]
	v_add_f64_e32 v[92:93], v[100:101], v[96:97]
	v_fma_f64 v[96:97], v[125:126], s[22:23], -v[110:111]
	v_mul_f64_e32 v[190:191], s[36:37], v[143:144]
	v_fma_f64 v[110:111], v[125:126], s[22:23], v[110:111]
	v_add_f64_e32 v[88:89], v[88:89], v[112:113]
	v_mul_f64_e32 v[112:113], s[24:25], v[145:146]
	v_add_f64_e32 v[96:97], v[96:97], v[98:99]
	s_delay_alu instid0(VALU_DEP_4) | instskip(NEXT) | instid1(VALU_DEP_3)
	v_add_f64_e32 v[110:111], v[110:111], v[175:176]
	v_fma_f64 v[98:99], v[121:122], s[22:23], v[112:113]
	v_fma_f64 v[112:113], v[121:122], s[22:23], -v[112:113]
	s_delay_alu instid0(VALU_DEP_2)
	v_add_f64_e32 v[98:99], v[98:99], v[116:117]
	v_mul_f64_e32 v[116:117], s[28:29], v[167:168]
	s_mov_b32 s29, 0x3fd207e7
	v_mul_f64_e32 v[167:168], s[24:25], v[167:168]
	s_wait_alu 0xfffe
	v_mul_f64_e32 v[169:170], s[28:29], v[133:134]
	v_mul_f64_e32 v[179:180], s[28:29], v[153:154]
	;; [unrolled: 1-line block ×5, first 2 shown]
	v_add_f64_e32 v[108:109], v[112:113], v[108:109]
	v_add_f64_e64 v[116:117], v[159:160], -v[116:117]
	v_fma_f64 v[100:101], v[135:136], s[26:27], -v[169:170]
	v_fma_f64 v[112:113], v[129:130], s[26:27], -v[179:180]
	v_fma_f64 v[102:103], v[121:122], s[26:27], v[145:146]
	v_fma_f64 v[145:146], v[121:122], s[26:27], -v[145:146]
	s_delay_alu instid0(VALU_DEP_4) | instskip(SKIP_1) | instid1(VALU_DEP_4)
	v_add_f64_e32 v[96:97], v[100:101], v[96:97]
	v_fma_f64 v[100:101], v[129:130], s[26:27], v[179:180]
	v_add_f64_e32 v[102:103], v[102:103], v[114:115]
	v_mul_f64_e32 v[114:115], s[34:35], v[133:134]
	v_add_f64_e32 v[106:107], v[145:146], v[106:107]
	v_fma_f64 v[145:146], v[151:152], s[22:23], -v[165:166]
	v_add_f64_e32 v[108:109], v[112:113], v[108:109]
	v_fma_f64 v[112:113], v[139:140], s[18:19], -v[192:193]
	;; [unrolled: 2-line block ×3, first 2 shown]
	s_delay_alu instid0(VALU_DEP_3) | instskip(SKIP_1) | instid1(VALU_DEP_3)
	v_add_f64_e32 v[108:109], v[112:113], v[108:109]
	v_fma_f64 v[112:113], v[151:152], s[2:3], -v[196:197]
	v_add_f64_e32 v[96:97], v[100:101], v[96:97]
	v_fma_f64 v[100:101], v[139:140], s[18:19], v[192:193]
	s_delay_alu instid0(VALU_DEP_3) | instskip(SKIP_2) | instid1(VALU_DEP_4)
	v_add_f64_e32 v[108:109], v[112:113], v[108:109]
	v_mul_f64_e32 v[112:113], s[14:15], v[123:124]
	v_mul_f64_e32 v[123:124], s[18:19], v[129:130]
	v_add_f64_e32 v[100:101], v[100:101], v[98:99]
	v_fma_f64 v[98:99], v[161:162], s[2:3], -v[194:195]
	s_delay_alu instid0(VALU_DEP_4) | instskip(NEXT) | instid1(VALU_DEP_4)
	v_add_f64_e64 v[112:113], v[131:132], -v[112:113]
	v_add_f64_e32 v[123:124], v[123:124], v[137:138]
	s_delay_alu instid0(VALU_DEP_3) | instskip(SKIP_1) | instid1(VALU_DEP_4)
	v_add_f64_e32 v[98:99], v[98:99], v[96:97]
	v_fma_f64 v[96:97], v[151:152], s[2:3], v[196:197]
	v_add_f64_e32 v[112:113], v[112:113], v[177:178]
	s_delay_alu instid0(VALU_DEP_2) | instskip(SKIP_3) | instid1(VALU_DEP_3)
	v_add_f64_e32 v[96:97], v[96:97], v[100:101]
	v_fma_f64 v[100:101], v[125:126], s[26:27], -v[104:105]
	v_fma_f64 v[104:105], v[125:126], s[26:27], v[104:105]
	v_fma_f64 v[125:126], v[147:148], s[18:19], v[190:191]
	v_add_f64_e32 v[100:101], v[100:101], v[171:172]
	v_fma_f64 v[171:172], v[135:136], s[10:11], -v[114:115]
	s_delay_alu instid0(VALU_DEP_4) | instskip(SKIP_1) | instid1(VALU_DEP_3)
	v_add_f64_e32 v[104:105], v[104:105], v[173:174]
	v_fma_f64 v[114:115], v[135:136], s[10:11], v[114:115]
	v_add_f64_e32 v[100:101], v[171:172], v[100:101]
	v_fma_f64 v[171:172], v[129:130], s[10:11], v[153:154]
	s_delay_alu instid0(VALU_DEP_3) | instskip(SKIP_1) | instid1(VALU_DEP_3)
	v_add_f64_e32 v[104:105], v[114:115], v[104:105]
	v_fma_f64 v[114:115], v[129:130], s[10:11], -v[153:154]
	v_add_f64_e32 v[102:103], v[171:172], v[102:103]
	v_mul_f64_e32 v[171:172], s[16:17], v[143:144]
	s_delay_alu instid0(VALU_DEP_3) | instskip(NEXT) | instid1(VALU_DEP_2)
	v_add_f64_e32 v[106:107], v[114:115], v[106:107]
	v_fma_f64 v[114:115], v[147:148], s[2:3], v[171:172]
	v_fma_f64 v[198:199], v[147:148], s[2:3], -v[171:172]
	s_delay_alu instid0(VALU_DEP_2) | instskip(SKIP_1) | instid1(VALU_DEP_3)
	v_add_f64_e32 v[104:105], v[114:115], v[104:105]
	v_fma_f64 v[114:115], v[139:140], s[2:3], -v[163:164]
	v_add_f64_e32 v[100:101], v[198:199], v[100:101]
	v_fma_f64 v[198:199], v[139:140], s[2:3], v[163:164]
	s_delay_alu instid0(VALU_DEP_3) | instskip(SKIP_1) | instid1(VALU_DEP_3)
	v_add_f64_e32 v[114:115], v[114:115], v[106:107]
	v_fma_f64 v[106:107], v[161:162], s[22:23], v[167:168]
	v_add_f64_e32 v[198:199], v[198:199], v[102:103]
	v_fma_f64 v[102:103], v[161:162], s[22:23], -v[167:168]
	s_delay_alu instid0(VALU_DEP_3) | instskip(SKIP_2) | instid1(VALU_DEP_4)
	v_add_f64_e32 v[106:107], v[106:107], v[104:105]
	v_add_f64_e32 v[104:105], v[145:146], v[114:115]
	v_fma_f64 v[114:115], v[135:136], s[26:27], v[169:170]
	v_add_f64_e32 v[102:103], v[102:103], v[100:101]
	v_fma_f64 v[100:101], v[151:152], s[22:23], v[165:166]
	v_fma_f64 v[135:136], v[161:162], s[2:3], v[194:195]
	s_delay_alu instid0(VALU_DEP_4) | instskip(SKIP_3) | instid1(VALU_DEP_4)
	v_add_f64_e32 v[110:111], v[114:115], v[110:111]
	v_mul_f64_e32 v[114:115], s[10:11], v[121:122]
	v_mul_f64_e32 v[121:122], s[20:21], v[133:134]
	v_add_f64_e32 v[100:101], v[100:101], v[198:199]
	v_add_f64_e32 v[110:111], v[125:126], v[110:111]
	s_delay_alu instid0(VALU_DEP_4) | instskip(NEXT) | instid1(VALU_DEP_4)
	v_add_f64_e32 v[114:115], v[114:115], v[127:128]
	v_add_f64_e64 v[121:122], v[141:142], -v[121:122]
	v_mul_f64_e32 v[125:126], s[24:25], v[143:144]
	s_delay_alu instid0(VALU_DEP_4) | instskip(NEXT) | instid1(VALU_DEP_4)
	v_add_f64_e32 v[110:111], v[135:136], v[110:111]
	v_add_f64_e32 v[114:115], v[114:115], v[118:119]
	v_mul_f64_e32 v[118:119], s[22:23], v[139:140]
	s_delay_alu instid0(VALU_DEP_4) | instskip(SKIP_4) | instid1(VALU_DEP_4)
	v_add_f64_e64 v[125:126], v[155:156], -v[125:126]
	v_add_f64_e32 v[112:113], v[121:122], v[112:113]
	v_mul_f64_e32 v[121:122], s[26:27], v[151:152]
	v_add_f64_e32 v[114:115], v[123:124], v[114:115]
	v_add_f64_e32 v[118:119], v[118:119], v[149:150]
	;; [unrolled: 1-line block ×3, first 2 shown]
	s_delay_alu instid0(VALU_DEP_4) | instskip(NEXT) | instid1(VALU_DEP_3)
	v_add_f64_e32 v[121:122], v[121:122], v[157:158]
	v_add_f64_e32 v[118:119], v[118:119], v[114:115]
	s_delay_alu instid0(VALU_DEP_3) | instskip(SKIP_1) | instid1(VALU_DEP_1)
	v_add_f64_e32 v[114:115], v[116:117], v[112:113]
	v_and_b32_e32 v116, 0xffff, v185
	v_lshl_add_u32 v116, v116, 4, v184
	s_delay_alu instid0(VALU_DEP_4)
	v_add_f64_e32 v[112:113], v[121:122], v[118:119]
	ds_store_b128 v116, v[96:99] offset:32
	ds_store_b128 v116, v[100:103] offset:48
	;; [unrolled: 1-line block ×9, first 2 shown]
	ds_store_b128 v116, v[80:83]
	ds_store_b128 v116, v[72:75] offset:160
.LBB0_17:
	s_wait_alu 0xfffe
	s_or_b32 exec_lo, exec_lo, s1
	global_wb scope:SCOPE_SE
	s_wait_dscnt 0x0
	s_barrier_signal -1
	s_barrier_wait -1
	global_inv scope:SCOPE_SE
	ds_load_b128 v[76:79], v186 offset:1584
	ds_load_b128 v[80:83], v186 offset:2640
	;; [unrolled: 1-line block ×6, first 2 shown]
	s_mov_b32 s14, 0x134454ff
	s_mov_b32 s15, 0xbfee6f0e
	;; [unrolled: 1-line block ×3, first 2 shown]
	s_wait_alu 0xfffe
	s_mov_b32 s2, s14
	s_mov_b32 s18, 0x4755a5e
	;; [unrolled: 1-line block ×4, first 2 shown]
	s_wait_alu 0xfffe
	s_mov_b32 s10, s18
	s_mov_b32 s16, 0x372fe950
	;; [unrolled: 1-line block ×6, first 2 shown]
	s_wait_alu 0xfffe
	s_mov_b32 s22, s16
	s_mov_b32 s25, 0xbfe9e377
	s_wait_dscnt 0x5
	v_mul_f64_e32 v[100:101], v[22:23], v[76:77]
	s_wait_dscnt 0x4
	v_mul_f64_e32 v[102:103], v[38:39], v[80:81]
	;; [unrolled: 2-line block ×5, first 2 shown]
	v_mul_f64_e32 v[22:23], v[22:23], v[78:79]
	v_mul_f64_e32 v[38:39], v[38:39], v[82:83]
	;; [unrolled: 1-line block ×4, first 2 shown]
	s_wait_dscnt 0x0
	v_mul_f64_e32 v[114:115], v[18:19], v[98:99]
	v_mul_f64_e32 v[18:19], v[18:19], v[96:97]
	;; [unrolled: 1-line block ×3, first 2 shown]
	s_mov_b32 s24, s20
	v_fma_f64 v[78:79], v[20:21], v[78:79], -v[100:101]
	v_fma_f64 v[82:83], v[36:37], v[82:83], -v[102:103]
	;; [unrolled: 1-line block ×4, first 2 shown]
	ds_load_b128 v[100:103], v186 offset:2112
	ds_load_b128 v[104:107], v186 offset:3168
	;; [unrolled: 1-line block ×3, first 2 shown]
	v_fma_f64 v[20:21], v[20:21], v[76:77], v[22:23]
	v_fma_f64 v[22:23], v[36:37], v[80:81], v[38:39]
	;; [unrolled: 1-line block ×4, first 2 shown]
	v_fma_f64 v[36:37], v[0:1], v[94:95], -v[112:113]
	v_fma_f64 v[42:43], v[16:17], v[96:97], v[114:115]
	v_fma_f64 v[16:17], v[16:17], v[98:99], -v[18:19]
	s_wait_dscnt 0x2
	v_mul_f64_e32 v[116:117], v[14:15], v[102:103]
	v_mul_f64_e32 v[14:15], v[14:15], v[100:101]
	s_wait_dscnt 0x1
	v_mul_f64_e32 v[118:119], v[10:11], v[106:107]
	s_wait_dscnt 0x0
	v_mul_f64_e32 v[121:122], v[6:7], v[110:111]
	v_mul_f64_e32 v[10:11], v[10:11], v[104:105]
	;; [unrolled: 1-line block ×3, first 2 shown]
	v_add_f64_e32 v[38:39], v[82:83], v[86:87]
	v_add_f64_e32 v[40:41], v[78:79], v[90:91]
	v_add_f64_e64 v[125:126], v[20:21], -v[22:23]
	v_add_f64_e64 v[88:89], v[22:23], -v[32:33]
	v_add_f64_e32 v[80:81], v[20:21], v[34:35]
	v_add_f64_e64 v[84:85], v[20:21], -v[34:35]
	v_add_f64_e64 v[127:128], v[34:35], -v[32:33]
	;; [unrolled: 1-line block ×3, first 2 shown]
	v_fma_f64 v[18:19], v[12:13], v[100:101], v[116:117]
	v_fma_f64 v[12:13], v[12:13], v[102:103], -v[14:15]
	v_fma_f64 v[14:15], v[8:9], v[104:105], v[118:119]
	v_fma_f64 v[76:77], v[4:5], v[108:109], v[121:122]
	v_fma_f64 v[8:9], v[8:9], v[106:107], -v[10:11]
	v_fma_f64 v[4:5], v[4:5], v[110:111], -v[6:7]
	v_fma_f64 v[6:7], v[0:1], v[92:93], v[2:3]
	v_add_f64_e32 v[10:11], v[22:23], v[32:33]
	v_add_f64_e64 v[100:101], v[78:79], -v[90:91]
	v_add_f64_e64 v[102:103], v[78:79], -v[82:83]
	;; [unrolled: 1-line block ×6, first 2 shown]
	ds_load_b128 v[0:3], v186
	global_wb scope:SCOPE_SE
	s_wait_dscnt 0x0
	s_barrier_signal -1
	s_barrier_wait -1
	v_fma_f64 v[38:39], v[38:39], -0.5, v[36:37]
	v_fma_f64 v[40:41], v[40:41], -0.5, v[36:37]
	v_add_f64_e32 v[36:37], v[36:37], v[78:79]
	global_inv scope:SCOPE_SE
	v_add_f64_e32 v[116:117], v[0:1], v[42:43]
	v_add_f64_e32 v[123:124], v[2:3], v[16:17]
	v_add_f64_e64 v[131:132], v[16:17], -v[12:13]
	v_add_f64_e32 v[92:93], v[18:19], v[14:15]
	v_add_f64_e32 v[94:95], v[42:43], v[76:77]
	;; [unrolled: 1-line block ×4, first 2 shown]
	v_fma_f64 v[80:81], v[80:81], -0.5, v[6:7]
	v_fma_f64 v[10:11], v[10:11], -0.5, v[6:7]
	v_add_f64_e32 v[6:7], v[6:7], v[20:21]
	v_add_f64_e64 v[118:119], v[16:17], -v[4:5]
	v_add_f64_e64 v[121:122], v[12:13], -v[8:9]
	;; [unrolled: 1-line block ×6, first 2 shown]
	v_fma_f64 v[112:113], v[84:85], s[2:3], v[38:39]
	v_fma_f64 v[114:115], v[88:89], s[14:15], v[40:41]
	v_fma_f64 v[40:41], v[88:89], s[2:3], v[40:41]
	v_fma_f64 v[38:39], v[84:85], s[14:15], v[38:39]
	v_add_f64_e32 v[36:37], v[36:37], v[82:83]
	v_add_f64_e32 v[12:13], v[123:124], v[12:13]
	v_fma_f64 v[78:79], v[92:93], -0.5, v[0:1]
	v_add_f64_e64 v[92:93], v[42:43], -v[76:77]
	v_fma_f64 v[0:1], v[94:95], -0.5, v[0:1]
	v_add_f64_e64 v[94:95], v[18:19], -v[14:15]
	v_fma_f64 v[96:97], v[96:97], -0.5, v[2:3]
	v_fma_f64 v[2:3], v[98:99], -0.5, v[2:3]
	v_add_f64_e32 v[98:99], v[102:103], v[104:105]
	v_add_f64_e32 v[102:103], v[106:107], v[108:109]
	v_fma_f64 v[104:105], v[100:101], s[14:15], v[10:11]
	v_fma_f64 v[10:11], v[100:101], s[2:3], v[10:11]
	;; [unrolled: 1-line block ×4, first 2 shown]
	v_add_f64_e32 v[6:7], v[6:7], v[22:23]
	v_add_f64_e32 v[22:23], v[125:126], v[127:128]
	;; [unrolled: 1-line block ×4, first 2 shown]
	v_fma_f64 v[108:109], v[88:89], s[10:11], v[112:113]
	v_fma_f64 v[112:113], v[84:85], s[10:11], v[114:115]
	;; [unrolled: 1-line block ×4, first 2 shown]
	v_add_f64_e64 v[84:85], v[42:43], -v[18:19]
	v_add_f64_e64 v[42:43], v[18:19], -v[42:43]
	v_add_f64_e32 v[18:19], v[116:117], v[18:19]
	v_add_f64_e64 v[88:89], v[76:77], -v[14:15]
	v_add_f64_e64 v[114:115], v[14:15], -v[76:77]
	v_add_f64_e32 v[8:9], v[12:13], v[8:9]
	v_add_f64_e32 v[12:13], v[36:37], v[86:87]
	v_fma_f64 v[82:83], v[118:119], s[14:15], v[78:79]
	v_fma_f64 v[78:79], v[118:119], s[2:3], v[78:79]
	v_fma_f64 v[116:117], v[121:122], s[2:3], v[0:1]
	v_fma_f64 v[0:1], v[121:122], s[14:15], v[0:1]
	v_fma_f64 v[123:124], v[92:93], s[2:3], v[96:97]
	v_fma_f64 v[125:126], v[94:95], s[14:15], v[2:3]
	v_fma_f64 v[2:3], v[94:95], s[2:3], v[2:3]
	v_fma_f64 v[96:97], v[92:93], s[14:15], v[96:97]
	v_fma_f64 v[104:105], v[110:111], s[18:19], v[104:105]
	v_fma_f64 v[10:11], v[110:111], s[10:11], v[10:11]
	v_fma_f64 v[106:107], v[100:101], s[18:19], v[106:107]
	v_fma_f64 v[80:81], v[100:101], s[10:11], v[80:81]
	v_add_f64_e32 v[6:7], v[6:7], v[32:33]
	v_fma_f64 v[100:101], v[98:99], s[16:17], v[108:109]
	v_fma_f64 v[108:109], v[102:103], s[16:17], v[112:113]
	v_fma_f64 v[40:41], v[102:103], s[16:17], v[40:41]
	v_fma_f64 v[38:39], v[98:99], s[16:17], v[38:39]
	v_add_f64_e32 v[14:15], v[18:19], v[14:15]
	v_add_f64_e32 v[84:85], v[84:85], v[88:89]
	;; [unrolled: 1-line block ×5, first 2 shown]
	v_fma_f64 v[18:19], v[121:122], s[18:19], v[82:83]
	v_fma_f64 v[32:33], v[121:122], s[10:11], v[78:79]
	;; [unrolled: 1-line block ×12, first 2 shown]
	v_mul_f64_e32 v[80:81], s[18:19], v[100:101]
	v_mul_f64_e32 v[100:101], s[20:21], v[100:101]
	;; [unrolled: 1-line block ×5, first 2 shown]
	s_wait_alu 0xfffe
	v_mul_f64_e32 v[40:41], s[22:23], v[40:41]
	v_mul_f64_e32 v[98:99], s[18:19], v[38:39]
	;; [unrolled: 1-line block ×3, first 2 shown]
	v_add_f64_e32 v[14:15], v[14:15], v[76:77]
	v_add_f64_e32 v[76:77], v[8:9], v[4:5]
	;; [unrolled: 1-line block ×3, first 2 shown]
	v_fma_f64 v[90:91], v[84:85], s[16:17], v[18:19]
	v_fma_f64 v[84:85], v[84:85], s[16:17], v[32:33]
	;; [unrolled: 1-line block ×16, first 2 shown]
	v_add_f64_e32 v[6:7], v[76:77], v[12:13]
	v_add_f64_e32 v[4:5], v[14:15], v[8:9]
	v_add_f64_e64 v[8:9], v[14:15], -v[8:9]
	v_add_f64_e64 v[10:11], v[76:77], -v[12:13]
	v_add_f64_e32 v[12:13], v[90:91], v[36:37]
	v_add_f64_e32 v[14:15], v[42:43], v[92:93]
	;; [unrolled: 1-line block ×8, first 2 shown]
	v_add_f64_e64 v[36:37], v[90:91], -v[36:37]
	v_add_f64_e64 v[38:39], v[42:43], -v[92:93]
	;; [unrolled: 1-line block ×8, first 2 shown]
	v_add_nc_u32_e32 v81, 0x210, v189
	v_add_nc_u32_e32 v80, 0x420, v189
	ds_store_b128 v188, v[4:7]
	ds_store_b128 v188, v[12:15] offset:176
	ds_store_b128 v188, v[16:19] offset:352
	;; [unrolled: 1-line block ×9, first 2 shown]
	global_wb scope:SCOPE_SE
	s_wait_dscnt 0x0
	s_barrier_signal -1
	s_barrier_wait -1
	global_inv scope:SCOPE_SE
	ds_load_b128 v[12:15], v186
	ds_load_b128 v[4:7], v186 offset:528
	ds_load_b128 v[36:39], v186 offset:3520
	;; [unrolled: 1-line block ×8, first 2 shown]
	s_and_saveexec_b32 s1, s0
	s_cbranch_execz .LBB0_19
; %bb.18:
	ds_load_b128 v[0:3], v186 offset:1584
	ds_load_b128 v[72:75], v186 offset:3344
	;; [unrolled: 1-line block ×3, first 2 shown]
.LBB0_19:
	s_wait_alu 0xfffe
	s_or_b32 exec_lo, exec_lo, s1
	s_wait_dscnt 0x4
	v_mul_f64_e32 v[82:83], v[66:67], v[78:79]
	v_mul_f64_e32 v[84:85], v[50:51], v[38:39]
	;; [unrolled: 1-line block ×4, first 2 shown]
	s_wait_dscnt 0x2
	v_mul_f64_e32 v[86:87], v[54:55], v[42:43]
	v_mul_f64_e32 v[88:89], v[46:47], v[18:19]
	;; [unrolled: 1-line block ×4, first 2 shown]
	s_wait_dscnt 0x1
	v_mul_f64_e32 v[90:91], v[62:63], v[22:23]
	s_wait_dscnt 0x0
	v_mul_f64_e32 v[92:93], v[58:59], v[34:35]
	v_mul_f64_e32 v[62:63], v[62:63], v[20:21]
	;; [unrolled: 1-line block ×3, first 2 shown]
	s_mov_b32 s2, 0xe8584caa
	s_mov_b32 s3, 0xbfebb67a
	;; [unrolled: 1-line block ×3, first 2 shown]
	s_wait_alu 0xfffe
	s_mov_b32 s10, s2
	v_fma_f64 v[76:77], v[64:65], v[76:77], v[82:83]
	v_fma_f64 v[36:37], v[48:49], v[36:37], v[84:85]
	v_fma_f64 v[64:65], v[64:65], v[78:79], -v[66:67]
	v_fma_f64 v[38:39], v[48:49], v[38:39], -v[50:51]
	v_fma_f64 v[40:41], v[52:53], v[40:41], v[86:87]
	v_fma_f64 v[16:17], v[44:45], v[16:17], v[88:89]
	v_fma_f64 v[42:43], v[52:53], v[42:43], -v[54:55]
	v_fma_f64 v[18:19], v[44:45], v[18:19], -v[46:47]
	;; [unrolled: 4-line block ×3, first 2 shown]
	v_add_f64_e32 v[56:57], v[12:13], v[76:77]
	v_add_f64_e32 v[44:45], v[76:77], v[36:37]
	;; [unrolled: 1-line block ×4, first 2 shown]
	v_add_f64_e64 v[58:59], v[64:65], -v[38:39]
	v_add_f64_e32 v[48:49], v[40:41], v[16:17]
	v_add_f64_e32 v[62:63], v[4:5], v[40:41]
	;; [unrolled: 1-line block ×5, first 2 shown]
	v_add_f64_e64 v[76:77], v[76:77], -v[36:37]
	v_add_f64_e32 v[54:55], v[22:23], v[34:35]
	v_add_f64_e32 v[66:67], v[8:9], v[20:21]
	;; [unrolled: 1-line block ×3, first 2 shown]
	v_add_f64_e64 v[42:43], v[42:43], -v[18:19]
	v_add_f64_e64 v[82:83], v[40:41], -v[16:17]
	;; [unrolled: 1-line block ×4, first 2 shown]
	v_fma_f64 v[44:45], v[44:45], -0.5, v[12:13]
	v_fma_f64 v[46:47], v[46:47], -0.5, v[14:15]
	;; [unrolled: 1-line block ×3, first 2 shown]
	v_lshl_add_u32 v4, v183, 4, v182
	v_fma_f64 v[50:51], v[50:51], -0.5, v[6:7]
	v_add_f64_e32 v[5:6], v[56:57], v[36:37]
	v_fma_f64 v[52:53], v[52:53], -0.5, v[8:9]
	v_add_f64_e32 v[7:8], v[60:61], v[38:39]
	;; [unrolled: 2-line block ×3, first 2 shown]
	v_add_f64_e32 v[11:12], v[64:65], v[18:19]
	v_add_f64_e32 v[13:14], v[66:67], v[32:33]
	;; [unrolled: 1-line block ×3, first 2 shown]
	v_fma_f64 v[17:18], v[58:59], s[2:3], v[44:45]
	s_wait_alu 0xfffe
	v_fma_f64 v[32:33], v[58:59], s[10:11], v[44:45]
	v_fma_f64 v[19:20], v[76:77], s[10:11], v[46:47]
	v_fma_f64 v[34:35], v[76:77], s[2:3], v[46:47]
	v_fma_f64 v[36:37], v[42:43], s[2:3], v[48:49]
	v_fma_f64 v[40:41], v[42:43], s[10:11], v[48:49]
	v_fma_f64 v[38:39], v[82:83], s[10:11], v[50:51]
	v_fma_f64 v[42:43], v[82:83], s[2:3], v[50:51]
	v_fma_f64 v[44:45], v[22:23], s[2:3], v[52:53]
	v_fma_f64 v[48:49], v[22:23], s[10:11], v[52:53]
	v_fma_f64 v[46:47], v[84:85], s[10:11], v[54:55]
	v_fma_f64 v[50:51], v[84:85], s[2:3], v[54:55]
	ds_store_b128 v187, v[5:8]
	ds_store_b128 v187, v[9:12] offset:528
	ds_store_b128 v187, v[17:20] offset:1760
	;; [unrolled: 1-line block ×8, first 2 shown]
	s_and_saveexec_b32 s1, s0
	s_cbranch_execz .LBB0_21
; %bb.20:
	v_mul_f64_e32 v[5:6], v[30:31], v[72:73]
	v_mul_f64_e32 v[7:8], v[26:27], v[68:69]
	;; [unrolled: 1-line block ×4, first 2 shown]
	s_delay_alu instid0(VALU_DEP_4) | instskip(NEXT) | instid1(VALU_DEP_4)
	v_fma_f64 v[5:6], v[28:29], v[74:75], -v[5:6]
	v_fma_f64 v[7:8], v[24:25], v[70:71], -v[7:8]
	s_delay_alu instid0(VALU_DEP_4) | instskip(NEXT) | instid1(VALU_DEP_4)
	v_fma_f64 v[9:10], v[28:29], v[72:73], v[9:10]
	v_fma_f64 v[11:12], v[24:25], v[68:69], v[11:12]
	s_delay_alu instid0(VALU_DEP_4) | instskip(NEXT) | instid1(VALU_DEP_4)
	v_add_f64_e32 v[19:20], v[2:3], v[5:6]
	v_add_f64_e32 v[13:14], v[5:6], v[7:8]
	v_add_f64_e64 v[5:6], v[5:6], -v[7:8]
	s_delay_alu instid0(VALU_DEP_4)
	v_add_f64_e32 v[15:16], v[9:10], v[11:12]
	v_add_f64_e64 v[17:18], v[9:10], -v[11:12]
	v_add_f64_e32 v[9:10], v[0:1], v[9:10]
	v_fma_f64 v[13:14], v[13:14], -0.5, v[2:3]
	v_add_f64_e32 v[2:3], v[19:20], v[7:8]
	v_fma_f64 v[15:16], v[15:16], -0.5, v[0:1]
	s_delay_alu instid0(VALU_DEP_4) | instskip(NEXT) | instid1(VALU_DEP_4)
	v_add_f64_e32 v[0:1], v[9:10], v[11:12]
	v_fma_f64 v[11:12], v[17:18], s[10:11], v[13:14]
	v_fma_f64 v[7:8], v[17:18], s[2:3], v[13:14]
	s_delay_alu instid0(VALU_DEP_4)
	v_fma_f64 v[9:10], v[5:6], s[2:3], v[15:16]
	v_fma_f64 v[5:6], v[5:6], s[10:11], v[15:16]
	ds_store_b128 v4, v[0:3] offset:1584
	ds_store_b128 v4, v[9:12] offset:3344
	;; [unrolled: 1-line block ×3, first 2 shown]
.LBB0_21:
	s_wait_alu 0xfffe
	s_or_b32 exec_lo, exec_lo, s1
	global_wb scope:SCOPE_SE
	s_wait_dscnt 0x0
	s_barrier_signal -1
	s_barrier_wait -1
	global_inv scope:SCOPE_SE
	s_and_b32 exec_lo, exec_lo, vcc_lo
	s_cbranch_execz .LBB0_23
; %bb.22:
	s_clause 0xa
	global_load_b128 v[0:3], v182, s[12:13]
	global_load_b128 v[5:8], v182, s[12:13] offset:480
	global_load_b128 v[9:12], v182, s[12:13] offset:960
	;; [unrolled: 1-line block ×10, first 2 shown]
	v_mad_co_u64_u32 v[89:90], null, s6, v120, 0
	v_mad_co_u64_u32 v[91:92], null, s4, v181, 0
	ds_load_b128 v[45:48], v187
	ds_load_b128 v[49:52], v4 offset:480
	ds_load_b128 v[53:56], v4 offset:960
	;; [unrolled: 1-line block ×3, first 2 shown]
	s_mul_u64 s[0:1], s[4:5], 0x1e0
	s_mov_b32 s2, 0x8d3018d3
	v_mov_b32_e32 v61, v90
	s_mov_b32 s3, 0x3f68d301
	v_mov_b32_e32 v69, v92
	s_delay_alu instid0(VALU_DEP_2)
	v_mad_co_u64_u32 v[77:78], null, s7, v120, v[61:62]
	ds_load_b128 v[61:64], v4 offset:1920
	ds_load_b128 v[65:68], v4 offset:2400
	v_mad_co_u64_u32 v[92:93], null, s5, v181, v[69:70]
	ds_load_b128 v[69:72], v4 offset:2880
	ds_load_b128 v[73:76], v4 offset:3360
	v_mov_b32_e32 v90, v77
	ds_load_b128 v[77:80], v4 offset:3840
	ds_load_b128 v[81:84], v4 offset:4320
	;; [unrolled: 1-line block ×3, first 2 shown]
	v_lshlrev_b64_e32 v[91:92], 4, v[91:92]
	v_lshlrev_b64_e32 v[89:90], 4, v[89:90]
	s_delay_alu instid0(VALU_DEP_1) | instskip(NEXT) | instid1(VALU_DEP_2)
	v_add_co_u32 v4, vcc_lo, s8, v89
	v_add_co_ci_u32_e32 v90, vcc_lo, s9, v90, vcc_lo
	s_delay_alu instid0(VALU_DEP_2) | instskip(SKIP_1) | instid1(VALU_DEP_2)
	v_add_co_u32 v89, vcc_lo, v4, v91
	s_wait_alu 0xfffd
	v_add_co_ci_u32_e32 v90, vcc_lo, v90, v92, vcc_lo
	s_wait_alu 0xfffe
	s_delay_alu instid0(VALU_DEP_2) | instskip(SKIP_1) | instid1(VALU_DEP_2)
	v_add_co_u32 v91, vcc_lo, v89, s0
	s_wait_alu 0xfffd
	v_add_co_ci_u32_e32 v92, vcc_lo, s1, v90, vcc_lo
	s_wait_loadcnt_dscnt 0xa0a
	v_mul_f64_e32 v[93:94], v[47:48], v[2:3]
	v_mul_f64_e32 v[2:3], v[45:46], v[2:3]
	s_wait_loadcnt_dscnt 0x909
	v_mul_f64_e32 v[95:96], v[51:52], v[7:8]
	v_mul_f64_e32 v[7:8], v[49:50], v[7:8]
	;; [unrolled: 3-line block ×11, first 2 shown]
	v_fma_f64 v[45:46], v[45:46], v[0:1], v[93:94]
	v_fma_f64 v[2:3], v[0:1], v[47:48], -v[2:3]
	v_fma_f64 v[47:48], v[49:50], v[5:6], v[95:96]
	v_fma_f64 v[6:7], v[5:6], v[51:52], -v[7:8]
	;; [unrolled: 2-line block ×11, first 2 shown]
	v_add_co_u32 v67, vcc_lo, v91, s0
	s_wait_alu 0xfffd
	v_add_co_ci_u32_e32 v68, vcc_lo, s1, v92, vcc_lo
	s_delay_alu instid0(VALU_DEP_2) | instskip(SKIP_1) | instid1(VALU_DEP_2)
	v_add_co_u32 v69, vcc_lo, v67, s0
	s_wait_alu 0xfffd
	v_add_co_ci_u32_e32 v70, vcc_lo, s1, v68, vcc_lo
	s_delay_alu instid0(VALU_DEP_2) | instskip(SKIP_1) | instid1(VALU_DEP_2)
	v_add_co_u32 v71, vcc_lo, v69, s0
	s_wait_alu 0xfffd
	v_add_co_ci_u32_e32 v72, vcc_lo, s1, v70, vcc_lo
	s_delay_alu instid0(VALU_DEP_2)
	v_add_co_u32 v44, vcc_lo, v71, s0
	v_mul_f64_e32 v[0:1], s[2:3], v[45:46]
	v_mul_f64_e32 v[2:3], s[2:3], v[2:3]
	;; [unrolled: 1-line block ×22, first 2 shown]
	s_wait_alu 0xfffd
	v_add_co_ci_u32_e32 v45, vcc_lo, s1, v72, vcc_lo
	v_add_co_u32 v46, vcc_lo, v44, s0
	s_wait_alu 0xfffd
	s_delay_alu instid0(VALU_DEP_2) | instskip(NEXT) | instid1(VALU_DEP_2)
	v_add_co_ci_u32_e32 v47, vcc_lo, s1, v45, vcc_lo
	v_add_co_u32 v48, vcc_lo, v46, s0
	s_wait_alu 0xfffd
	s_delay_alu instid0(VALU_DEP_2) | instskip(NEXT) | instid1(VALU_DEP_2)
	;; [unrolled: 4-line block ×4, first 2 shown]
	v_add_co_ci_u32_e32 v53, vcc_lo, s1, v51, vcc_lo
	v_add_co_u32 v54, vcc_lo, v52, s0
	s_wait_alu 0xfffd
	s_delay_alu instid0(VALU_DEP_2)
	v_add_co_ci_u32_e32 v55, vcc_lo, s1, v53, vcc_lo
	s_clause 0x4
	global_store_b128 v[89:90], v[0:3], off
	global_store_b128 v[91:92], v[4:7], off
	;; [unrolled: 1-line block ×11, first 2 shown]
.LBB0_23:
	s_nop 0
	s_sendmsg sendmsg(MSG_DEALLOC_VGPRS)
	s_endpgm
	.section	.rodata,"a",@progbits
	.p2align	6, 0x0
	.amdhsa_kernel bluestein_single_back_len330_dim1_dp_op_CI_CI
		.amdhsa_group_segment_fixed_size 15840
		.amdhsa_private_segment_fixed_size 0
		.amdhsa_kernarg_size 104
		.amdhsa_user_sgpr_count 2
		.amdhsa_user_sgpr_dispatch_ptr 0
		.amdhsa_user_sgpr_queue_ptr 0
		.amdhsa_user_sgpr_kernarg_segment_ptr 1
		.amdhsa_user_sgpr_dispatch_id 0
		.amdhsa_user_sgpr_private_segment_size 0
		.amdhsa_wavefront_size32 1
		.amdhsa_uses_dynamic_stack 0
		.amdhsa_enable_private_segment 0
		.amdhsa_system_sgpr_workgroup_id_x 1
		.amdhsa_system_sgpr_workgroup_id_y 0
		.amdhsa_system_sgpr_workgroup_id_z 0
		.amdhsa_system_sgpr_workgroup_info 0
		.amdhsa_system_vgpr_workitem_id 0
		.amdhsa_next_free_vgpr 238
		.amdhsa_next_free_sgpr 40
		.amdhsa_reserve_vcc 1
		.amdhsa_float_round_mode_32 0
		.amdhsa_float_round_mode_16_64 0
		.amdhsa_float_denorm_mode_32 3
		.amdhsa_float_denorm_mode_16_64 3
		.amdhsa_fp16_overflow 0
		.amdhsa_workgroup_processor_mode 1
		.amdhsa_memory_ordered 1
		.amdhsa_forward_progress 0
		.amdhsa_round_robin_scheduling 0
		.amdhsa_exception_fp_ieee_invalid_op 0
		.amdhsa_exception_fp_denorm_src 0
		.amdhsa_exception_fp_ieee_div_zero 0
		.amdhsa_exception_fp_ieee_overflow 0
		.amdhsa_exception_fp_ieee_underflow 0
		.amdhsa_exception_fp_ieee_inexact 0
		.amdhsa_exception_int_div_zero 0
	.end_amdhsa_kernel
	.text
.Lfunc_end0:
	.size	bluestein_single_back_len330_dim1_dp_op_CI_CI, .Lfunc_end0-bluestein_single_back_len330_dim1_dp_op_CI_CI
                                        ; -- End function
	.section	.AMDGPU.csdata,"",@progbits
; Kernel info:
; codeLenInByte = 12996
; NumSgprs: 42
; NumVgprs: 238
; ScratchSize: 0
; MemoryBound: 0
; FloatMode: 240
; IeeeMode: 1
; LDSByteSize: 15840 bytes/workgroup (compile time only)
; SGPRBlocks: 5
; VGPRBlocks: 29
; NumSGPRsForWavesPerEU: 42
; NumVGPRsForWavesPerEU: 238
; Occupancy: 6
; WaveLimiterHint : 1
; COMPUTE_PGM_RSRC2:SCRATCH_EN: 0
; COMPUTE_PGM_RSRC2:USER_SGPR: 2
; COMPUTE_PGM_RSRC2:TRAP_HANDLER: 0
; COMPUTE_PGM_RSRC2:TGID_X_EN: 1
; COMPUTE_PGM_RSRC2:TGID_Y_EN: 0
; COMPUTE_PGM_RSRC2:TGID_Z_EN: 0
; COMPUTE_PGM_RSRC2:TIDIG_COMP_CNT: 0
	.text
	.p2alignl 7, 3214868480
	.fill 96, 4, 3214868480
	.type	__hip_cuid_eace9d990abca572,@object ; @__hip_cuid_eace9d990abca572
	.section	.bss,"aw",@nobits
	.globl	__hip_cuid_eace9d990abca572
__hip_cuid_eace9d990abca572:
	.byte	0                               ; 0x0
	.size	__hip_cuid_eace9d990abca572, 1

	.ident	"AMD clang version 19.0.0git (https://github.com/RadeonOpenCompute/llvm-project roc-6.4.0 25133 c7fe45cf4b819c5991fe208aaa96edf142730f1d)"
	.section	".note.GNU-stack","",@progbits
	.addrsig
	.addrsig_sym __hip_cuid_eace9d990abca572
	.amdgpu_metadata
---
amdhsa.kernels:
  - .args:
      - .actual_access:  read_only
        .address_space:  global
        .offset:         0
        .size:           8
        .value_kind:     global_buffer
      - .actual_access:  read_only
        .address_space:  global
        .offset:         8
        .size:           8
        .value_kind:     global_buffer
      - .actual_access:  read_only
        .address_space:  global
        .offset:         16
        .size:           8
        .value_kind:     global_buffer
      - .actual_access:  read_only
        .address_space:  global
        .offset:         24
        .size:           8
        .value_kind:     global_buffer
      - .actual_access:  read_only
        .address_space:  global
        .offset:         32
        .size:           8
        .value_kind:     global_buffer
      - .offset:         40
        .size:           8
        .value_kind:     by_value
      - .address_space:  global
        .offset:         48
        .size:           8
        .value_kind:     global_buffer
      - .address_space:  global
        .offset:         56
        .size:           8
        .value_kind:     global_buffer
      - .address_space:  global
        .offset:         64
        .size:           8
        .value_kind:     global_buffer
      - .address_space:  global
        .offset:         72
        .size:           8
        .value_kind:     global_buffer
      - .offset:         80
        .size:           4
        .value_kind:     by_value
      - .address_space:  global
        .offset:         88
        .size:           8
        .value_kind:     global_buffer
      - .address_space:  global
        .offset:         96
        .size:           8
        .value_kind:     global_buffer
    .group_segment_fixed_size: 15840
    .kernarg_segment_align: 8
    .kernarg_segment_size: 104
    .language:       OpenCL C
    .language_version:
      - 2
      - 0
    .max_flat_workgroup_size: 99
    .name:           bluestein_single_back_len330_dim1_dp_op_CI_CI
    .private_segment_fixed_size: 0
    .sgpr_count:     42
    .sgpr_spill_count: 0
    .symbol:         bluestein_single_back_len330_dim1_dp_op_CI_CI.kd
    .uniform_work_group_size: 1
    .uses_dynamic_stack: false
    .vgpr_count:     238
    .vgpr_spill_count: 0
    .wavefront_size: 32
    .workgroup_processor_mode: 1
amdhsa.target:   amdgcn-amd-amdhsa--gfx1201
amdhsa.version:
  - 1
  - 2
...

	.end_amdgpu_metadata
